;; amdgpu-corpus repo=ROCm/rocSOLVER kind=compiled arch=gfx1100 opt=O3
	.text
	.amdgcn_target "amdgcn-amd-amdhsa--gfx1100"
	.amdhsa_code_object_version 6
	.section	.text._ZN9rocsolver6v33100L18larfg_kernel_smallILi64E19rocblas_complex_numIdEidPS3_EEvT1_T3_llPT2_llS6_lS5_lPT0_l,"axG",@progbits,_ZN9rocsolver6v33100L18larfg_kernel_smallILi64E19rocblas_complex_numIdEidPS3_EEvT1_T3_llPT2_llS6_lS5_lPT0_l,comdat
	.globl	_ZN9rocsolver6v33100L18larfg_kernel_smallILi64E19rocblas_complex_numIdEidPS3_EEvT1_T3_llPT2_llS6_lS5_lPT0_l ; -- Begin function _ZN9rocsolver6v33100L18larfg_kernel_smallILi64E19rocblas_complex_numIdEidPS3_EEvT1_T3_llPT2_llS6_lS5_lPT0_l
	.p2align	8
	.type	_ZN9rocsolver6v33100L18larfg_kernel_smallILi64E19rocblas_complex_numIdEidPS3_EEvT1_T3_llPT2_llS6_lS5_lPT0_l,@function
_ZN9rocsolver6v33100L18larfg_kernel_smallILi64E19rocblas_complex_numIdEidPS3_EEvT1_T3_llPT2_llS6_lS5_lPT0_l: ; @_ZN9rocsolver6v33100L18larfg_kernel_smallILi64E19rocblas_complex_numIdEidPS3_EEvT1_T3_llPT2_llS6_lS5_lPT0_l
; %bb.0:
	s_load_b512 s[16:31], s[0:1], 0x8
	s_ashr_i32 s33, s15, 31
	s_mov_b64 s[8:9], 0
	s_waitcnt lgkmcnt(0)
	s_cmp_eq_u64 s[22:23], 0
	s_cbranch_scc1 .LBB0_2
; %bb.1:
	s_mul_i32 s2, s15, s27
	s_mul_hi_u32 s3, s15, s26
	s_mul_i32 s4, s33, s26
	s_add_i32 s3, s3, s2
	s_mul_i32 s2, s15, s26
	s_add_i32 s3, s3, s4
	s_delay_alu instid0(SALU_CYCLE_1) | instskip(NEXT) | instid1(SALU_CYCLE_1)
	s_lshl_b64 s[2:3], s[2:3], 3
	s_add_u32 s4, s22, s2
	s_addc_u32 s5, s23, s3
	s_lshl_b64 s[2:3], s[24:25], 3
	s_delay_alu instid0(SALU_CYCLE_1)
	s_add_u32 s8, s4, s2
	s_addc_u32 s9, s5, s3
.LBB0_2:
	s_clause 0x3
	s_load_b128 s[4:7], s[0:1], 0x50
	s_load_b32 s22, s[0:1], 0x48
	s_load_b32 s14, s[0:1], 0x0
	s_load_b64 s[2:3], s[0:1], 0x60
	v_mov_b32_e32 v1, 0
	v_mov_b32_e32 v2, 0
	s_delay_alu instid0(VALU_DEP_1)
	v_dual_mov_b32 v4, v2 :: v_dual_mov_b32 v3, v1
	s_waitcnt lgkmcnt(0)
	s_mul_i32 s0, s15, s5
	s_mul_hi_u32 s1, s15, s4
	s_mul_i32 s5, s33, s4
	s_add_i32 s1, s1, s0
	s_mul_i32 s0, s15, s4
	s_add_i32 s1, s1, s5
	v_mul_lo_u32 v5, v0, s22
	s_lshl_b64 s[0:1], s[0:1], 4
	s_delay_alu instid0(SALU_CYCLE_1) | instskip(SKIP_2) | instid1(SALU_CYCLE_1)
	s_add_u32 s4, s28, s0
	s_addc_u32 s5, s29, s1
	s_lshl_b64 s[0:1], s[30:31], 4
	s_add_u32 s12, s4, s0
	s_addc_u32 s13, s5, s1
	s_add_i32 s14, s14, -1
	s_delay_alu instid0(SALU_CYCLE_1) | instskip(NEXT) | instid1(VALU_DEP_1)
	v_cmp_gt_i32_e64 s0, s14, v0
	s_and_saveexec_b32 s1, s0
	s_cbranch_execz .LBB0_6
; %bb.3:
	v_dual_mov_b32 v1, 0 :: v_dual_mov_b32 v8, v0
	v_mov_b32_e32 v2, 0
	v_mul_lo_u32 v6, v0, s22
	s_lshl_b32 s5, s22, 6
	s_mov_b32 s4, 0
	s_delay_alu instid0(VALU_DEP_2)
	v_dual_mov_b32 v4, v2 :: v_dual_mov_b32 v3, v1
	.p2align	6
.LBB0_4:                                ; =>This Inner Loop Header: Depth=1
	s_delay_alu instid0(VALU_DEP_2) | instskip(SKIP_1) | instid1(VALU_DEP_2)
	v_ashrrev_i32_e32 v7, 31, v6
	v_add_nc_u32_e32 v8, 64, v8
	v_lshlrev_b64 v[9:10], 4, v[6:7]
	v_add_nc_u32_e32 v6, s5, v6
	s_delay_alu instid0(VALU_DEP_2) | instskip(NEXT) | instid1(VALU_DEP_3)
	v_add_co_u32 v9, vcc_lo, s12, v9
	v_add_co_ci_u32_e32 v10, vcc_lo, s13, v10, vcc_lo
	v_cmp_le_i32_e32 vcc_lo, s14, v8
	global_load_b128 v[9:12], v[9:10], off
	s_or_b32 s4, vcc_lo, s4
	s_waitcnt vmcnt(0)
	v_mul_f64 v[13:14], v[11:12], v[11:12]
	v_mul_f64 v[15:16], v[9:10], v[11:12]
	s_delay_alu instid0(VALU_DEP_2) | instskip(NEXT) | instid1(VALU_DEP_2)
	v_fma_f64 v[13:14], v[9:10], v[9:10], v[13:14]
	v_fma_f64 v[9:10], v[9:10], v[11:12], -v[15:16]
	s_delay_alu instid0(VALU_DEP_2) | instskip(NEXT) | instid1(VALU_DEP_2)
	v_add_f64 v[3:4], v[3:4], v[13:14]
	v_add_f64 v[1:2], v[1:2], v[9:10]
	s_and_not1_b32 exec_lo, exec_lo, s4
	s_cbranch_execnz .LBB0_4
; %bb.5:
	s_or_b32 exec_lo, exec_lo, s4
.LBB0_6:
	s_delay_alu instid0(SALU_CYCLE_1) | instskip(SKIP_2) | instid1(VALU_DEP_1)
	s_or_b32 exec_lo, exec_lo, s1
	v_mbcnt_lo_u32_b32 v10, -1, 0
	s_mov_b32 s1, exec_lo
	v_cmp_ne_u32_e32 vcc_lo, 31, v10
	v_add_co_ci_u32_e32 v6, vcc_lo, 0, v10, vcc_lo
	v_cmp_gt_u32_e32 vcc_lo, 30, v10
	s_delay_alu instid0(VALU_DEP_2)
	v_lshlrev_b32_e32 v9, 2, v6
	ds_bpermute_b32 v6, v9, v3
	ds_bpermute_b32 v7, v9, v4
	ds_bpermute_b32 v8, v9, v1
	ds_bpermute_b32 v9, v9, v2
	s_waitcnt lgkmcnt(2)
	v_add_f64 v[3:4], v[3:4], v[6:7]
	v_cndmask_b32_e64 v6, 0, 1, vcc_lo
	s_waitcnt lgkmcnt(0)
	v_add_f64 v[1:2], v[1:2], v[8:9]
	v_cmp_gt_u32_e32 vcc_lo, 28, v10
	s_delay_alu instid0(VALU_DEP_3) | instskip(NEXT) | instid1(VALU_DEP_1)
	v_lshlrev_b32_e32 v6, 1, v6
	v_add_lshl_u32 v9, v6, v10, 2
	ds_bpermute_b32 v6, v9, v3
	ds_bpermute_b32 v7, v9, v4
	ds_bpermute_b32 v8, v9, v1
	ds_bpermute_b32 v9, v9, v2
	s_waitcnt lgkmcnt(2)
	v_add_f64 v[3:4], v[3:4], v[6:7]
	v_cndmask_b32_e64 v6, 0, 1, vcc_lo
	s_waitcnt lgkmcnt(0)
	v_add_f64 v[1:2], v[1:2], v[8:9]
	v_cmp_gt_u32_e32 vcc_lo, 24, v10
	s_delay_alu instid0(VALU_DEP_3) | instskip(NEXT) | instid1(VALU_DEP_1)
	v_lshlrev_b32_e32 v6, 2, v6
	v_add_lshl_u32 v9, v6, v10, 2
	ds_bpermute_b32 v6, v9, v3
	ds_bpermute_b32 v7, v9, v4
	ds_bpermute_b32 v8, v9, v1
	ds_bpermute_b32 v9, v9, v2
	s_waitcnt lgkmcnt(2)
	v_add_f64 v[3:4], v[3:4], v[6:7]
	v_cndmask_b32_e64 v6, 0, 1, vcc_lo
	s_waitcnt lgkmcnt(0)
	v_add_f64 v[1:2], v[1:2], v[8:9]
	v_cmp_gt_u32_e32 vcc_lo, 16, v10
	s_delay_alu instid0(VALU_DEP_3) | instskip(NEXT) | instid1(VALU_DEP_1)
	v_lshlrev_b32_e32 v6, 3, v6
	v_add_lshl_u32 v9, v6, v10, 2
	ds_bpermute_b32 v6, v9, v3
	ds_bpermute_b32 v7, v9, v4
	;; [unrolled: 1-line block ×4, first 2 shown]
	s_waitcnt lgkmcnt(2)
	v_add_f64 v[3:4], v[3:4], v[6:7]
	s_waitcnt lgkmcnt(0)
	v_add_f64 v[6:7], v[1:2], v[8:9]
	v_cndmask_b32_e64 v1, 0, 1, vcc_lo
	s_delay_alu instid0(VALU_DEP_1) | instskip(NEXT) | instid1(VALU_DEP_1)
	v_lshlrev_b32_e32 v1, 4, v1
	v_add_lshl_u32 v9, v1, v10, 2
	ds_bpermute_b32 v1, v9, v3
	ds_bpermute_b32 v2, v9, v4
	;; [unrolled: 1-line block ×4, first 2 shown]
	s_waitcnt lgkmcnt(2)
	v_add_f64 v[1:2], v[3:4], v[1:2]
	s_waitcnt lgkmcnt(0)
	v_add_f64 v[3:4], v[6:7], v[8:9]
	v_and_b32_e32 v6, 31, v0
	s_delay_alu instid0(VALU_DEP_1)
	v_cmpx_eq_u32_e32 0, v6
	s_cbranch_execz .LBB0_8
; %bb.7:
	v_lshrrev_b32_e32 v6, 1, v0
	ds_store_b128 v6, v[1:4]
.LBB0_8:
	s_or_b32 exec_lo, exec_lo, s1
	v_cmp_eq_u32_e32 vcc_lo, 0, v0
	s_waitcnt lgkmcnt(0)
	s_barrier
	buffer_gl0_inv
	s_and_saveexec_b32 s1, vcc_lo
	s_cbranch_execz .LBB0_10
; %bb.9:
	v_mov_b32_e32 v10, 0
	ds_load_b128 v[6:9], v10 offset:16
	s_waitcnt lgkmcnt(0)
	v_add_f64 v[1:2], v[1:2], v[6:7]
	v_add_f64 v[3:4], v[3:4], v[8:9]
	ds_store_b128 v10, v[1:4]
.LBB0_10:
	s_or_b32 exec_lo, exec_lo, s1
	s_waitcnt lgkmcnt(0)
	s_barrier
	buffer_gl0_inv
	s_and_saveexec_b32 s23, vcc_lo
	s_cbranch_execz .LBB0_20
; %bb.11:
	s_mul_i32 s1, s15, s21
	s_mul_hi_u32 s4, s15, s20
	s_mul_i32 s5, s33, s20
	s_add_i32 s1, s4, s1
	s_mul_i32 s4, s15, s20
	s_add_i32 s5, s1, s5
	v_mov_b32_e32 v1, 0
	s_lshl_b64 s[4:5], s[4:5], 4
	s_delay_alu instid0(SALU_CYCLE_1)
	s_add_u32 s1, s16, s4
	s_addc_u32 s10, s17, s5
	s_lshl_b64 s[4:5], s[18:19], 4
	ds_load_b64 v[8:9], v1
	s_add_u32 s4, s1, s4
	s_addc_u32 s5, s10, s5
	s_mul_i32 s1, s15, s3
	s_load_b64 s[10:11], s[4:5], 0x8
	s_mul_hi_u32 s3, s15, s2
	s_delay_alu instid0(SALU_CYCLE_1)
	s_add_i32 s1, s3, s1
	s_mul_i32 s3, s33, s2
	s_mul_i32 s2, s15, s2
	s_add_i32 s3, s1, s3
	s_mov_b32 s1, 0
	s_lshl_b64 s[2:3], s[2:3], 4
	s_delay_alu instid0(SALU_CYCLE_1)
	s_add_u32 s6, s6, s2
	s_addc_u32 s7, s7, s3
	s_cmp_eq_u64 s[8:9], 0
	s_cselect_b32 s15, -1, 0
	s_cmp_lg_u64 s[8:9], 0
	s_waitcnt lgkmcnt(0)
	v_max_f64 v[2:3], v[8:9], v[8:9]
	s_cselect_b32 s16, -1, 0
	v_mul_f64 v[6:7], s[10:11], s[10:11]
	s_delay_alu instid0(VALU_DEP_1) | instskip(NEXT) | instid1(VALU_DEP_1)
	v_max_f64 v[2:3], v[2:3], v[6:7]
	v_cmp_nlt_f64_e32 vcc_lo, 0, v[2:3]
	s_cbranch_vccz .LBB0_14
; %bb.12:
	v_dual_mov_b32 v2, 0x3ff00000 :: v_dual_mov_b32 v3, v1
	v_mov_b32_e32 v4, v1
	s_mov_b32 s3, 0
	s_and_b32 vcc_lo, exec_lo, s16
	ds_store_b128 v1, v[1:4]
	v_mov_b32_e32 v2, v1
	global_store_b128 v1, v[1:4], s[6:7]
                                        ; implicit-def: $vgpr3_vgpr4
	s_cbranch_vccz .LBB0_15
; %bb.13:
	v_mov_b32_e32 v1, 0
	s_mov_b32 s2, -1
	global_load_b64 v[1:2], v1, s[4:5]
	s_and_b32 vcc_lo, exec_lo, s3
	s_cbranch_vccnz .LBB0_16
	s_branch .LBB0_17
.LBB0_14:
	s_mov_b32 s3, -1
.LBB0_15:
	s_mov_b32 s2, 0
                                        ; implicit-def: $vgpr1_vgpr2
	s_and_b32 vcc_lo, exec_lo, s3
	s_cbranch_vccz .LBB0_17
.LBB0_16:
	s_load_b64 s[2:3], s[4:5], 0x0
	s_waitcnt vmcnt(0) lgkmcnt(0)
	v_fma_f64 v[1:2], s[2:3], s[2:3], v[6:7]
	s_delay_alu instid0(VALU_DEP_1) | instskip(NEXT) | instid1(VALU_DEP_1)
	v_add_f64 v[1:2], v[8:9], v[1:2]
	v_cmp_gt_f64_e32 vcc_lo, 0x10000000, v[1:2]
	v_cndmask_b32_e64 v3, 0, 1, vcc_lo
	s_and_b32 s1, vcc_lo, exec_lo
	s_cselect_b32 s1, 0xffffff80, 0
	s_delay_alu instid0(VALU_DEP_1) | instskip(NEXT) | instid1(VALU_DEP_1)
	v_lshlrev_b32_e32 v3, 8, v3
	v_ldexp_f64 v[1:2], v[1:2], v3
	s_delay_alu instid0(VALU_DEP_1) | instskip(SKIP_4) | instid1(VALU_DEP_1)
	v_rsq_f64_e32 v[3:4], v[1:2]
	v_cmp_class_f64_e64 vcc_lo, v[1:2], 0x260
	s_waitcnt_depctr 0xfff
	v_mul_f64 v[8:9], v[1:2], v[3:4]
	v_mul_f64 v[3:4], v[3:4], 0.5
	v_fma_f64 v[10:11], -v[3:4], v[8:9], 0.5
	s_delay_alu instid0(VALU_DEP_1) | instskip(SKIP_1) | instid1(VALU_DEP_2)
	v_fma_f64 v[8:9], v[8:9], v[10:11], v[8:9]
	v_fma_f64 v[3:4], v[3:4], v[10:11], v[3:4]
	v_fma_f64 v[10:11], -v[8:9], v[8:9], v[1:2]
	s_delay_alu instid0(VALU_DEP_1) | instskip(NEXT) | instid1(VALU_DEP_1)
	v_fma_f64 v[8:9], v[10:11], v[3:4], v[8:9]
	v_fma_f64 v[10:11], -v[8:9], v[8:9], v[1:2]
	s_delay_alu instid0(VALU_DEP_1) | instskip(NEXT) | instid1(VALU_DEP_1)
	v_fma_f64 v[3:4], v[10:11], v[3:4], v[8:9]
	v_ldexp_f64 v[3:4], v[3:4], s1
	s_delay_alu instid0(VALU_DEP_1) | instskip(SKIP_1) | instid1(VALU_DEP_2)
	v_dual_cndmask_b32 v2, v4, v2 :: v_dual_cndmask_b32 v1, v3, v1
	v_cmp_ge_f64_e64 vcc_lo, s[2:3], 0
	v_xor_b32_e32 v3, 0x80000000, v2
	s_delay_alu instid0(VALU_DEP_1) | instskip(NEXT) | instid1(VALU_DEP_1)
	v_cndmask_b32_e32 v2, v2, v3, vcc_lo
	v_add_f64 v[3:4], s[2:3], -v[1:2]
	v_add_f64 v[10:11], v[1:2], -s[2:3]
	v_div_scale_f64 v[16:17], null, v[1:2], v[1:2], -s[10:11]
	s_delay_alu instid0(VALU_DEP_3) | instskip(NEXT) | instid1(VALU_DEP_3)
	v_fma_f64 v[8:9], v[3:4], v[3:4], v[6:7]
	v_div_scale_f64 v[14:15], null, v[1:2], v[1:2], v[10:11]
	s_delay_alu instid0(VALU_DEP_3) | instskip(NEXT) | instid1(VALU_DEP_2)
	v_rcp_f64_e32 v[24:25], v[16:17]
	v_div_scale_f64 v[6:7], null, v[8:9], v[8:9], v[3:4]
	v_div_scale_f64 v[12:13], null, v[8:9], v[8:9], -s[10:11]
	s_delay_alu instid0(VALU_DEP_3)
	v_rcp_f64_e32 v[22:23], v[14:15]
	s_waitcnt_depctr 0xfff
	v_fma_f64 v[32:33], -v[16:17], v[24:25], 1.0
	v_div_scale_f64 v[34:35], vcc_lo, v[3:4], v[8:9], v[3:4]
	v_rcp_f64_e32 v[18:19], v[6:7]
	v_rcp_f64_e32 v[20:21], v[12:13]
	s_delay_alu instid0(VALU_DEP_2)
	v_fma_f64 v[24:25], v[24:25], v[32:33], v[24:25]
	v_fma_f64 v[30:31], -v[14:15], v[22:23], 1.0
	s_waitcnt_depctr 0xfff
	v_fma_f64 v[26:27], -v[6:7], v[18:19], 1.0
	v_fma_f64 v[28:29], -v[12:13], v[20:21], 1.0
	;; [unrolled: 1-line block ×3, first 2 shown]
	v_fma_f64 v[22:23], v[22:23], v[30:31], v[22:23]
	s_delay_alu instid0(VALU_DEP_4) | instskip(NEXT) | instid1(VALU_DEP_4)
	v_fma_f64 v[18:19], v[18:19], v[26:27], v[18:19]
	v_fma_f64 v[20:21], v[20:21], v[28:29], v[20:21]
	s_delay_alu instid0(VALU_DEP_4) | instskip(NEXT) | instid1(VALU_DEP_4)
	v_fma_f64 v[24:25], v[24:25], v[32:33], v[24:25]
	v_fma_f64 v[30:31], -v[14:15], v[22:23], 1.0
	s_delay_alu instid0(VALU_DEP_4) | instskip(NEXT) | instid1(VALU_DEP_4)
	v_fma_f64 v[26:27], -v[6:7], v[18:19], 1.0
	v_fma_f64 v[28:29], -v[12:13], v[20:21], 1.0
	s_delay_alu instid0(VALU_DEP_3) | instskip(SKIP_1) | instid1(VALU_DEP_4)
	v_fma_f64 v[22:23], v[22:23], v[30:31], v[22:23]
	v_div_scale_f64 v[30:31], s3, -s[10:11], v[1:2], -s[10:11]
	v_fma_f64 v[18:19], v[18:19], v[26:27], v[18:19]
	v_div_scale_f64 v[26:27], s1, -s[10:11], v[8:9], -s[10:11]
	v_fma_f64 v[20:21], v[20:21], v[28:29], v[20:21]
	v_div_scale_f64 v[28:29], s2, v[10:11], v[1:2], v[10:11]
	v_mul_f64 v[40:41], v[30:31], v[24:25]
	v_mul_f64 v[32:33], v[34:35], v[18:19]
	s_delay_alu instid0(VALU_DEP_4) | instskip(NEXT) | instid1(VALU_DEP_4)
	v_mul_f64 v[36:37], v[26:27], v[20:21]
	v_mul_f64 v[38:39], v[28:29], v[22:23]
	s_delay_alu instid0(VALU_DEP_4) | instskip(NEXT) | instid1(VALU_DEP_4)
	v_fma_f64 v[16:17], -v[16:17], v[40:41], v[30:31]
	v_fma_f64 v[6:7], -v[6:7], v[32:33], v[34:35]
	s_delay_alu instid0(VALU_DEP_4) | instskip(NEXT) | instid1(VALU_DEP_4)
	v_fma_f64 v[12:13], -v[12:13], v[36:37], v[26:27]
	v_fma_f64 v[14:15], -v[14:15], v[38:39], v[28:29]
	s_delay_alu instid0(VALU_DEP_3) | instskip(SKIP_2) | instid1(VALU_DEP_3)
	v_div_fmas_f64 v[6:7], v[6:7], v[18:19], v[32:33]
	s_mov_b32 vcc_lo, s1
	s_mov_b32 s1, s15
	v_div_fmas_f64 v[12:13], v[12:13], v[20:21], v[36:37]
	s_mov_b32 vcc_lo, s2
	s_mov_b32 s2, s16
	s_delay_alu instid0(VALU_DEP_3) | instskip(SKIP_2) | instid1(VALU_DEP_4)
	v_div_fmas_f64 v[14:15], v[14:15], v[22:23], v[38:39]
	s_mov_b32 vcc_lo, s3
	v_div_fmas_f64 v[16:17], v[16:17], v[24:25], v[40:41]
	v_div_fixup_f64 v[6:7], v[6:7], v[8:9], v[3:4]
	v_mov_b32_e32 v3, 0
	v_div_fixup_f64 v[8:9], v[12:13], v[8:9], -s[10:11]
	v_div_fixup_f64 v[10:11], v[14:15], v[1:2], v[10:11]
	v_div_fixup_f64 v[12:13], v[16:17], v[1:2], -s[10:11]
	ds_store_b128 v3, v[6:9]
	global_store_b128 v3, v[10:13], s[6:7]
.LBB0_17:
	s_and_not1_b32 vcc_lo, exec_lo, s2
	s_cbranch_vccz .LBB0_24
; %bb.18:
	s_and_not1_b32 vcc_lo, exec_lo, s1
	s_cbranch_vccnz .LBB0_20
.LBB0_19:
	v_mov_b32_e32 v3, 0
	s_delay_alu instid0(VALU_DEP_1)
	v_mov_b32_e32 v4, v3
	s_waitcnt vmcnt(0) lgkmcnt(0)
	global_store_b128 v3, v[1:4], s[4:5]
.LBB0_20:
	s_or_b32 exec_lo, exec_lo, s23
	s_waitcnt vmcnt(0) lgkmcnt(0)
	s_waitcnt_vscnt null, 0x0
	s_barrier
	buffer_gl0_inv
	s_and_saveexec_b32 s1, s0
	s_cbranch_execz .LBB0_23
; %bb.21:
	v_mov_b32_e32 v1, 0
	s_lshl_b32 s0, s22, 6
	s_mov_b32 s1, 0
	ds_load_b128 v[1:4], v1
	.p2align	6
.LBB0_22:                               ; =>This Inner Loop Header: Depth=1
	v_ashrrev_i32_e32 v6, 31, v5
	v_add_nc_u32_e32 v0, 64, v0
	s_delay_alu instid0(VALU_DEP_2) | instskip(SKIP_1) | instid1(VALU_DEP_2)
	v_lshlrev_b64 v[6:7], 4, v[5:6]
	v_add_nc_u32_e32 v5, s0, v5
	v_add_co_u32 v12, vcc_lo, s12, v6
	s_delay_alu instid0(VALU_DEP_3)
	v_add_co_ci_u32_e32 v13, vcc_lo, s13, v7, vcc_lo
	v_cmp_le_i32_e32 vcc_lo, s14, v0
	global_load_b128 v[6:9], v[12:13], off
	s_or_b32 s1, vcc_lo, s1
	s_waitcnt vmcnt(0) lgkmcnt(0)
	v_mul_f64 v[10:11], v[3:4], v[8:9]
	v_mul_f64 v[14:15], v[1:2], v[8:9]
	s_delay_alu instid0(VALU_DEP_2) | instskip(NEXT) | instid1(VALU_DEP_2)
	v_fma_f64 v[8:9], v[1:2], v[6:7], -v[10:11]
	v_fma_f64 v[10:11], v[3:4], v[6:7], v[14:15]
	global_store_b128 v[12:13], v[8:11], off
	s_and_not1_b32 exec_lo, exec_lo, s1
	s_cbranch_execnz .LBB0_22
.LBB0_23:
	s_nop 0
	s_sendmsg sendmsg(MSG_DEALLOC_VGPRS)
	s_endpgm
.LBB0_24:
	v_dual_mov_b32 v3, s8 :: v_dual_mov_b32 v4, s9
	s_waitcnt vmcnt(0)
	flat_store_b64 v[3:4], v[1:2]
	v_mov_b32_e32 v1, 0
	v_mov_b32_e32 v2, 0x3ff00000
	s_branch .LBB0_19
	.section	.rodata,"a",@progbits
	.p2align	6, 0x0
	.amdhsa_kernel _ZN9rocsolver6v33100L18larfg_kernel_smallILi64E19rocblas_complex_numIdEidPS3_EEvT1_T3_llPT2_llS6_lS5_lPT0_l
		.amdhsa_group_segment_fixed_size 32
		.amdhsa_private_segment_fixed_size 0
		.amdhsa_kernarg_size 104
		.amdhsa_user_sgpr_count 14
		.amdhsa_user_sgpr_dispatch_ptr 0
		.amdhsa_user_sgpr_queue_ptr 0
		.amdhsa_user_sgpr_kernarg_segment_ptr 1
		.amdhsa_user_sgpr_dispatch_id 0
		.amdhsa_user_sgpr_private_segment_size 0
		.amdhsa_wavefront_size32 1
		.amdhsa_uses_dynamic_stack 0
		.amdhsa_enable_private_segment 0
		.amdhsa_system_sgpr_workgroup_id_x 1
		.amdhsa_system_sgpr_workgroup_id_y 0
		.amdhsa_system_sgpr_workgroup_id_z 1
		.amdhsa_system_sgpr_workgroup_info 0
		.amdhsa_system_vgpr_workitem_id 0
		.amdhsa_next_free_vgpr 42
		.amdhsa_next_free_sgpr 34
		.amdhsa_reserve_vcc 1
		.amdhsa_float_round_mode_32 0
		.amdhsa_float_round_mode_16_64 0
		.amdhsa_float_denorm_mode_32 3
		.amdhsa_float_denorm_mode_16_64 3
		.amdhsa_dx10_clamp 1
		.amdhsa_ieee_mode 1
		.amdhsa_fp16_overflow 0
		.amdhsa_workgroup_processor_mode 1
		.amdhsa_memory_ordered 1
		.amdhsa_forward_progress 0
		.amdhsa_shared_vgpr_count 0
		.amdhsa_exception_fp_ieee_invalid_op 0
		.amdhsa_exception_fp_denorm_src 0
		.amdhsa_exception_fp_ieee_div_zero 0
		.amdhsa_exception_fp_ieee_overflow 0
		.amdhsa_exception_fp_ieee_underflow 0
		.amdhsa_exception_fp_ieee_inexact 0
		.amdhsa_exception_int_div_zero 0
	.end_amdhsa_kernel
	.section	.text._ZN9rocsolver6v33100L18larfg_kernel_smallILi64E19rocblas_complex_numIdEidPS3_EEvT1_T3_llPT2_llS6_lS5_lPT0_l,"axG",@progbits,_ZN9rocsolver6v33100L18larfg_kernel_smallILi64E19rocblas_complex_numIdEidPS3_EEvT1_T3_llPT2_llS6_lS5_lPT0_l,comdat
.Lfunc_end0:
	.size	_ZN9rocsolver6v33100L18larfg_kernel_smallILi64E19rocblas_complex_numIdEidPS3_EEvT1_T3_llPT2_llS6_lS5_lPT0_l, .Lfunc_end0-_ZN9rocsolver6v33100L18larfg_kernel_smallILi64E19rocblas_complex_numIdEidPS3_EEvT1_T3_llPT2_llS6_lS5_lPT0_l
                                        ; -- End function
	.section	.AMDGPU.csdata,"",@progbits
; Kernel info:
; codeLenInByte = 2160
; NumSgprs: 36
; NumVgprs: 42
; ScratchSize: 0
; MemoryBound: 0
; FloatMode: 240
; IeeeMode: 1
; LDSByteSize: 32 bytes/workgroup (compile time only)
; SGPRBlocks: 4
; VGPRBlocks: 5
; NumSGPRsForWavesPerEU: 36
; NumVGPRsForWavesPerEU: 42
; Occupancy: 16
; WaveLimiterHint : 1
; COMPUTE_PGM_RSRC2:SCRATCH_EN: 0
; COMPUTE_PGM_RSRC2:USER_SGPR: 14
; COMPUTE_PGM_RSRC2:TRAP_HANDLER: 0
; COMPUTE_PGM_RSRC2:TGID_X_EN: 1
; COMPUTE_PGM_RSRC2:TGID_Y_EN: 0
; COMPUTE_PGM_RSRC2:TGID_Z_EN: 1
; COMPUTE_PGM_RSRC2:TIDIG_COMP_CNT: 0
	.section	.text._ZN9rocsolver6v33100L18larfg_kernel_smallILi128E19rocblas_complex_numIdEidPS3_EEvT1_T3_llPT2_llS6_lS5_lPT0_l,"axG",@progbits,_ZN9rocsolver6v33100L18larfg_kernel_smallILi128E19rocblas_complex_numIdEidPS3_EEvT1_T3_llPT2_llS6_lS5_lPT0_l,comdat
	.globl	_ZN9rocsolver6v33100L18larfg_kernel_smallILi128E19rocblas_complex_numIdEidPS3_EEvT1_T3_llPT2_llS6_lS5_lPT0_l ; -- Begin function _ZN9rocsolver6v33100L18larfg_kernel_smallILi128E19rocblas_complex_numIdEidPS3_EEvT1_T3_llPT2_llS6_lS5_lPT0_l
	.p2align	8
	.type	_ZN9rocsolver6v33100L18larfg_kernel_smallILi128E19rocblas_complex_numIdEidPS3_EEvT1_T3_llPT2_llS6_lS5_lPT0_l,@function
_ZN9rocsolver6v33100L18larfg_kernel_smallILi128E19rocblas_complex_numIdEidPS3_EEvT1_T3_llPT2_llS6_lS5_lPT0_l: ; @_ZN9rocsolver6v33100L18larfg_kernel_smallILi128E19rocblas_complex_numIdEidPS3_EEvT1_T3_llPT2_llS6_lS5_lPT0_l
; %bb.0:
	s_load_b512 s[16:31], s[0:1], 0x8
	s_ashr_i32 s33, s15, 31
	s_mov_b64 s[8:9], 0
	s_waitcnt lgkmcnt(0)
	s_cmp_eq_u64 s[22:23], 0
	s_cbranch_scc1 .LBB1_2
; %bb.1:
	s_mul_i32 s2, s15, s27
	s_mul_hi_u32 s3, s15, s26
	s_mul_i32 s4, s33, s26
	s_add_i32 s3, s3, s2
	s_mul_i32 s2, s15, s26
	s_add_i32 s3, s3, s4
	s_delay_alu instid0(SALU_CYCLE_1) | instskip(NEXT) | instid1(SALU_CYCLE_1)
	s_lshl_b64 s[2:3], s[2:3], 3
	s_add_u32 s4, s22, s2
	s_addc_u32 s5, s23, s3
	s_lshl_b64 s[2:3], s[24:25], 3
	s_delay_alu instid0(SALU_CYCLE_1)
	s_add_u32 s8, s4, s2
	s_addc_u32 s9, s5, s3
.LBB1_2:
	s_clause 0x3
	s_load_b128 s[4:7], s[0:1], 0x50
	s_load_b32 s22, s[0:1], 0x48
	s_load_b32 s14, s[0:1], 0x0
	s_load_b64 s[2:3], s[0:1], 0x60
	v_mov_b32_e32 v1, 0
	v_mov_b32_e32 v2, 0
	s_delay_alu instid0(VALU_DEP_1)
	v_dual_mov_b32 v4, v2 :: v_dual_mov_b32 v3, v1
	s_waitcnt lgkmcnt(0)
	s_mul_i32 s0, s15, s5
	s_mul_hi_u32 s1, s15, s4
	s_mul_i32 s5, s33, s4
	s_add_i32 s1, s1, s0
	s_mul_i32 s0, s15, s4
	s_add_i32 s1, s1, s5
	v_mul_lo_u32 v5, v0, s22
	s_lshl_b64 s[0:1], s[0:1], 4
	s_delay_alu instid0(SALU_CYCLE_1) | instskip(SKIP_2) | instid1(SALU_CYCLE_1)
	s_add_u32 s4, s28, s0
	s_addc_u32 s5, s29, s1
	s_lshl_b64 s[0:1], s[30:31], 4
	s_add_u32 s12, s4, s0
	s_addc_u32 s13, s5, s1
	s_add_i32 s14, s14, -1
	s_delay_alu instid0(SALU_CYCLE_1) | instskip(NEXT) | instid1(VALU_DEP_1)
	v_cmp_gt_i32_e64 s0, s14, v0
	s_and_saveexec_b32 s1, s0
	s_cbranch_execz .LBB1_6
; %bb.3:
	v_dual_mov_b32 v1, 0 :: v_dual_mov_b32 v8, v0
	v_mov_b32_e32 v2, 0
	v_mul_lo_u32 v6, v0, s22
	s_lshl_b32 s5, s22, 7
	s_mov_b32 s4, 0
	s_delay_alu instid0(VALU_DEP_2)
	v_dual_mov_b32 v4, v2 :: v_dual_mov_b32 v3, v1
	.p2align	6
.LBB1_4:                                ; =>This Inner Loop Header: Depth=1
	s_delay_alu instid0(VALU_DEP_2) | instskip(SKIP_1) | instid1(VALU_DEP_2)
	v_ashrrev_i32_e32 v7, 31, v6
	v_add_nc_u32_e32 v8, 0x80, v8
	v_lshlrev_b64 v[9:10], 4, v[6:7]
	v_add_nc_u32_e32 v6, s5, v6
	s_delay_alu instid0(VALU_DEP_2) | instskip(NEXT) | instid1(VALU_DEP_3)
	v_add_co_u32 v9, vcc_lo, s12, v9
	v_add_co_ci_u32_e32 v10, vcc_lo, s13, v10, vcc_lo
	v_cmp_le_i32_e32 vcc_lo, s14, v8
	global_load_b128 v[9:12], v[9:10], off
	s_or_b32 s4, vcc_lo, s4
	s_waitcnt vmcnt(0)
	v_mul_f64 v[13:14], v[11:12], v[11:12]
	v_mul_f64 v[15:16], v[9:10], v[11:12]
	s_delay_alu instid0(VALU_DEP_2) | instskip(NEXT) | instid1(VALU_DEP_2)
	v_fma_f64 v[13:14], v[9:10], v[9:10], v[13:14]
	v_fma_f64 v[9:10], v[9:10], v[11:12], -v[15:16]
	s_delay_alu instid0(VALU_DEP_2) | instskip(NEXT) | instid1(VALU_DEP_2)
	v_add_f64 v[3:4], v[3:4], v[13:14]
	v_add_f64 v[1:2], v[1:2], v[9:10]
	s_and_not1_b32 exec_lo, exec_lo, s4
	s_cbranch_execnz .LBB1_4
; %bb.5:
	s_or_b32 exec_lo, exec_lo, s4
.LBB1_6:
	s_delay_alu instid0(SALU_CYCLE_1) | instskip(SKIP_2) | instid1(VALU_DEP_1)
	s_or_b32 exec_lo, exec_lo, s1
	v_mbcnt_lo_u32_b32 v10, -1, 0
	s_mov_b32 s1, exec_lo
	v_cmp_ne_u32_e32 vcc_lo, 31, v10
	v_add_co_ci_u32_e32 v6, vcc_lo, 0, v10, vcc_lo
	v_cmp_gt_u32_e32 vcc_lo, 30, v10
	s_delay_alu instid0(VALU_DEP_2)
	v_lshlrev_b32_e32 v9, 2, v6
	ds_bpermute_b32 v6, v9, v3
	ds_bpermute_b32 v7, v9, v4
	ds_bpermute_b32 v8, v9, v1
	ds_bpermute_b32 v9, v9, v2
	s_waitcnt lgkmcnt(2)
	v_add_f64 v[3:4], v[3:4], v[6:7]
	v_cndmask_b32_e64 v6, 0, 1, vcc_lo
	s_waitcnt lgkmcnt(0)
	v_add_f64 v[1:2], v[1:2], v[8:9]
	v_cmp_gt_u32_e32 vcc_lo, 28, v10
	s_delay_alu instid0(VALU_DEP_3) | instskip(NEXT) | instid1(VALU_DEP_1)
	v_lshlrev_b32_e32 v6, 1, v6
	v_add_lshl_u32 v9, v6, v10, 2
	ds_bpermute_b32 v6, v9, v3
	ds_bpermute_b32 v7, v9, v4
	ds_bpermute_b32 v8, v9, v1
	ds_bpermute_b32 v9, v9, v2
	s_waitcnt lgkmcnt(2)
	v_add_f64 v[3:4], v[3:4], v[6:7]
	v_cndmask_b32_e64 v6, 0, 1, vcc_lo
	s_waitcnt lgkmcnt(0)
	v_add_f64 v[1:2], v[1:2], v[8:9]
	v_cmp_gt_u32_e32 vcc_lo, 24, v10
	s_delay_alu instid0(VALU_DEP_3) | instskip(NEXT) | instid1(VALU_DEP_1)
	v_lshlrev_b32_e32 v6, 2, v6
	v_add_lshl_u32 v9, v6, v10, 2
	ds_bpermute_b32 v6, v9, v3
	ds_bpermute_b32 v7, v9, v4
	ds_bpermute_b32 v8, v9, v1
	ds_bpermute_b32 v9, v9, v2
	s_waitcnt lgkmcnt(2)
	v_add_f64 v[3:4], v[3:4], v[6:7]
	v_cndmask_b32_e64 v6, 0, 1, vcc_lo
	s_waitcnt lgkmcnt(0)
	v_add_f64 v[1:2], v[1:2], v[8:9]
	v_cmp_gt_u32_e32 vcc_lo, 16, v10
	s_delay_alu instid0(VALU_DEP_3) | instskip(NEXT) | instid1(VALU_DEP_1)
	v_lshlrev_b32_e32 v6, 3, v6
	v_add_lshl_u32 v9, v6, v10, 2
	ds_bpermute_b32 v6, v9, v3
	ds_bpermute_b32 v7, v9, v4
	;; [unrolled: 1-line block ×4, first 2 shown]
	s_waitcnt lgkmcnt(2)
	v_add_f64 v[3:4], v[3:4], v[6:7]
	s_waitcnt lgkmcnt(0)
	v_add_f64 v[6:7], v[1:2], v[8:9]
	v_cndmask_b32_e64 v1, 0, 1, vcc_lo
	s_delay_alu instid0(VALU_DEP_1) | instskip(NEXT) | instid1(VALU_DEP_1)
	v_lshlrev_b32_e32 v1, 4, v1
	v_add_lshl_u32 v9, v1, v10, 2
	ds_bpermute_b32 v1, v9, v3
	ds_bpermute_b32 v2, v9, v4
	;; [unrolled: 1-line block ×4, first 2 shown]
	s_waitcnt lgkmcnt(2)
	v_add_f64 v[1:2], v[3:4], v[1:2]
	s_waitcnt lgkmcnt(0)
	v_add_f64 v[3:4], v[6:7], v[8:9]
	v_and_b32_e32 v6, 31, v0
	s_delay_alu instid0(VALU_DEP_1)
	v_cmpx_eq_u32_e32 0, v6
	s_cbranch_execz .LBB1_8
; %bb.7:
	v_lshrrev_b32_e32 v6, 1, v0
	ds_store_b128 v6, v[1:4]
.LBB1_8:
	s_or_b32 exec_lo, exec_lo, s1
	v_cmp_eq_u32_e32 vcc_lo, 0, v0
	s_waitcnt lgkmcnt(0)
	s_barrier
	buffer_gl0_inv
	s_and_saveexec_b32 s1, vcc_lo
	s_cbranch_execz .LBB1_10
; %bb.9:
	v_mov_b32_e32 v14, 0
	ds_load_b128 v[6:9], v14 offset:16
	ds_load_b128 v[10:13], v14 offset:32
	s_waitcnt lgkmcnt(1)
	v_add_f64 v[1:2], v[1:2], v[6:7]
	v_add_f64 v[3:4], v[3:4], v[8:9]
	s_waitcnt lgkmcnt(0)
	s_delay_alu instid0(VALU_DEP_2) | instskip(NEXT) | instid1(VALU_DEP_2)
	v_add_f64 v[6:7], v[1:2], v[10:11]
	v_add_f64 v[8:9], v[3:4], v[12:13]
	ds_load_b128 v[1:4], v14 offset:48
	s_waitcnt lgkmcnt(0)
	v_add_f64 v[1:2], v[6:7], v[1:2]
	v_add_f64 v[3:4], v[8:9], v[3:4]
	ds_store_b128 v14, v[1:4]
.LBB1_10:
	s_or_b32 exec_lo, exec_lo, s1
	s_waitcnt lgkmcnt(0)
	s_barrier
	buffer_gl0_inv
	s_and_saveexec_b32 s23, vcc_lo
	s_cbranch_execz .LBB1_20
; %bb.11:
	s_mul_i32 s1, s15, s21
	s_mul_hi_u32 s4, s15, s20
	s_mul_i32 s5, s33, s20
	s_add_i32 s1, s4, s1
	s_mul_i32 s4, s15, s20
	s_add_i32 s5, s1, s5
	v_mov_b32_e32 v1, 0
	s_lshl_b64 s[4:5], s[4:5], 4
	s_delay_alu instid0(SALU_CYCLE_1)
	s_add_u32 s1, s16, s4
	s_addc_u32 s10, s17, s5
	s_lshl_b64 s[4:5], s[18:19], 4
	ds_load_b64 v[8:9], v1
	s_add_u32 s4, s1, s4
	s_addc_u32 s5, s10, s5
	s_mul_i32 s1, s15, s3
	s_load_b64 s[10:11], s[4:5], 0x8
	s_mul_hi_u32 s3, s15, s2
	s_delay_alu instid0(SALU_CYCLE_1)
	s_add_i32 s1, s3, s1
	s_mul_i32 s3, s33, s2
	s_mul_i32 s2, s15, s2
	s_add_i32 s3, s1, s3
	s_mov_b32 s1, 0
	s_lshl_b64 s[2:3], s[2:3], 4
	s_delay_alu instid0(SALU_CYCLE_1)
	s_add_u32 s6, s6, s2
	s_addc_u32 s7, s7, s3
	s_cmp_eq_u64 s[8:9], 0
	s_cselect_b32 s15, -1, 0
	s_cmp_lg_u64 s[8:9], 0
	s_waitcnt lgkmcnt(0)
	v_max_f64 v[2:3], v[8:9], v[8:9]
	s_cselect_b32 s16, -1, 0
	v_mul_f64 v[6:7], s[10:11], s[10:11]
	s_delay_alu instid0(VALU_DEP_1) | instskip(NEXT) | instid1(VALU_DEP_1)
	v_max_f64 v[2:3], v[2:3], v[6:7]
	v_cmp_nlt_f64_e32 vcc_lo, 0, v[2:3]
	s_cbranch_vccz .LBB1_14
; %bb.12:
	v_dual_mov_b32 v2, 0x3ff00000 :: v_dual_mov_b32 v3, v1
	v_mov_b32_e32 v4, v1
	s_mov_b32 s3, 0
	s_and_b32 vcc_lo, exec_lo, s16
	ds_store_b128 v1, v[1:4]
	v_mov_b32_e32 v2, v1
	global_store_b128 v1, v[1:4], s[6:7]
                                        ; implicit-def: $vgpr3_vgpr4
	s_cbranch_vccz .LBB1_15
; %bb.13:
	v_mov_b32_e32 v1, 0
	s_mov_b32 s2, -1
	global_load_b64 v[1:2], v1, s[4:5]
	s_and_b32 vcc_lo, exec_lo, s3
	s_cbranch_vccnz .LBB1_16
	s_branch .LBB1_17
.LBB1_14:
	s_mov_b32 s3, -1
.LBB1_15:
	s_mov_b32 s2, 0
                                        ; implicit-def: $vgpr1_vgpr2
	s_and_b32 vcc_lo, exec_lo, s3
	s_cbranch_vccz .LBB1_17
.LBB1_16:
	s_load_b64 s[2:3], s[4:5], 0x0
	s_waitcnt vmcnt(0) lgkmcnt(0)
	v_fma_f64 v[1:2], s[2:3], s[2:3], v[6:7]
	s_delay_alu instid0(VALU_DEP_1) | instskip(NEXT) | instid1(VALU_DEP_1)
	v_add_f64 v[1:2], v[8:9], v[1:2]
	v_cmp_gt_f64_e32 vcc_lo, 0x10000000, v[1:2]
	v_cndmask_b32_e64 v3, 0, 1, vcc_lo
	s_and_b32 s1, vcc_lo, exec_lo
	s_cselect_b32 s1, 0xffffff80, 0
	s_delay_alu instid0(VALU_DEP_1) | instskip(NEXT) | instid1(VALU_DEP_1)
	v_lshlrev_b32_e32 v3, 8, v3
	v_ldexp_f64 v[1:2], v[1:2], v3
	s_delay_alu instid0(VALU_DEP_1) | instskip(SKIP_4) | instid1(VALU_DEP_1)
	v_rsq_f64_e32 v[3:4], v[1:2]
	v_cmp_class_f64_e64 vcc_lo, v[1:2], 0x260
	s_waitcnt_depctr 0xfff
	v_mul_f64 v[8:9], v[1:2], v[3:4]
	v_mul_f64 v[3:4], v[3:4], 0.5
	v_fma_f64 v[10:11], -v[3:4], v[8:9], 0.5
	s_delay_alu instid0(VALU_DEP_1) | instskip(SKIP_1) | instid1(VALU_DEP_2)
	v_fma_f64 v[8:9], v[8:9], v[10:11], v[8:9]
	v_fma_f64 v[3:4], v[3:4], v[10:11], v[3:4]
	v_fma_f64 v[10:11], -v[8:9], v[8:9], v[1:2]
	s_delay_alu instid0(VALU_DEP_1) | instskip(NEXT) | instid1(VALU_DEP_1)
	v_fma_f64 v[8:9], v[10:11], v[3:4], v[8:9]
	v_fma_f64 v[10:11], -v[8:9], v[8:9], v[1:2]
	s_delay_alu instid0(VALU_DEP_1) | instskip(NEXT) | instid1(VALU_DEP_1)
	v_fma_f64 v[3:4], v[10:11], v[3:4], v[8:9]
	v_ldexp_f64 v[3:4], v[3:4], s1
	s_delay_alu instid0(VALU_DEP_1) | instskip(SKIP_1) | instid1(VALU_DEP_2)
	v_dual_cndmask_b32 v2, v4, v2 :: v_dual_cndmask_b32 v1, v3, v1
	v_cmp_ge_f64_e64 vcc_lo, s[2:3], 0
	v_xor_b32_e32 v3, 0x80000000, v2
	s_delay_alu instid0(VALU_DEP_1) | instskip(NEXT) | instid1(VALU_DEP_1)
	v_cndmask_b32_e32 v2, v2, v3, vcc_lo
	v_add_f64 v[3:4], s[2:3], -v[1:2]
	v_add_f64 v[10:11], v[1:2], -s[2:3]
	v_div_scale_f64 v[16:17], null, v[1:2], v[1:2], -s[10:11]
	s_delay_alu instid0(VALU_DEP_3) | instskip(NEXT) | instid1(VALU_DEP_3)
	v_fma_f64 v[8:9], v[3:4], v[3:4], v[6:7]
	v_div_scale_f64 v[14:15], null, v[1:2], v[1:2], v[10:11]
	s_delay_alu instid0(VALU_DEP_3) | instskip(NEXT) | instid1(VALU_DEP_2)
	v_rcp_f64_e32 v[24:25], v[16:17]
	v_div_scale_f64 v[6:7], null, v[8:9], v[8:9], v[3:4]
	v_div_scale_f64 v[12:13], null, v[8:9], v[8:9], -s[10:11]
	s_delay_alu instid0(VALU_DEP_3)
	v_rcp_f64_e32 v[22:23], v[14:15]
	s_waitcnt_depctr 0xfff
	v_fma_f64 v[32:33], -v[16:17], v[24:25], 1.0
	v_div_scale_f64 v[34:35], vcc_lo, v[3:4], v[8:9], v[3:4]
	v_rcp_f64_e32 v[18:19], v[6:7]
	v_rcp_f64_e32 v[20:21], v[12:13]
	s_delay_alu instid0(VALU_DEP_2)
	v_fma_f64 v[24:25], v[24:25], v[32:33], v[24:25]
	v_fma_f64 v[30:31], -v[14:15], v[22:23], 1.0
	s_waitcnt_depctr 0xfff
	v_fma_f64 v[26:27], -v[6:7], v[18:19], 1.0
	v_fma_f64 v[28:29], -v[12:13], v[20:21], 1.0
	;; [unrolled: 1-line block ×3, first 2 shown]
	v_fma_f64 v[22:23], v[22:23], v[30:31], v[22:23]
	s_delay_alu instid0(VALU_DEP_4) | instskip(NEXT) | instid1(VALU_DEP_4)
	v_fma_f64 v[18:19], v[18:19], v[26:27], v[18:19]
	v_fma_f64 v[20:21], v[20:21], v[28:29], v[20:21]
	s_delay_alu instid0(VALU_DEP_4) | instskip(NEXT) | instid1(VALU_DEP_4)
	v_fma_f64 v[24:25], v[24:25], v[32:33], v[24:25]
	v_fma_f64 v[30:31], -v[14:15], v[22:23], 1.0
	s_delay_alu instid0(VALU_DEP_4) | instskip(NEXT) | instid1(VALU_DEP_4)
	v_fma_f64 v[26:27], -v[6:7], v[18:19], 1.0
	v_fma_f64 v[28:29], -v[12:13], v[20:21], 1.0
	s_delay_alu instid0(VALU_DEP_3) | instskip(SKIP_1) | instid1(VALU_DEP_4)
	v_fma_f64 v[22:23], v[22:23], v[30:31], v[22:23]
	v_div_scale_f64 v[30:31], s3, -s[10:11], v[1:2], -s[10:11]
	v_fma_f64 v[18:19], v[18:19], v[26:27], v[18:19]
	v_div_scale_f64 v[26:27], s1, -s[10:11], v[8:9], -s[10:11]
	v_fma_f64 v[20:21], v[20:21], v[28:29], v[20:21]
	v_div_scale_f64 v[28:29], s2, v[10:11], v[1:2], v[10:11]
	v_mul_f64 v[40:41], v[30:31], v[24:25]
	v_mul_f64 v[32:33], v[34:35], v[18:19]
	s_delay_alu instid0(VALU_DEP_4) | instskip(NEXT) | instid1(VALU_DEP_4)
	v_mul_f64 v[36:37], v[26:27], v[20:21]
	v_mul_f64 v[38:39], v[28:29], v[22:23]
	s_delay_alu instid0(VALU_DEP_4) | instskip(NEXT) | instid1(VALU_DEP_4)
	v_fma_f64 v[16:17], -v[16:17], v[40:41], v[30:31]
	v_fma_f64 v[6:7], -v[6:7], v[32:33], v[34:35]
	s_delay_alu instid0(VALU_DEP_4) | instskip(NEXT) | instid1(VALU_DEP_4)
	v_fma_f64 v[12:13], -v[12:13], v[36:37], v[26:27]
	v_fma_f64 v[14:15], -v[14:15], v[38:39], v[28:29]
	s_delay_alu instid0(VALU_DEP_3) | instskip(SKIP_2) | instid1(VALU_DEP_3)
	v_div_fmas_f64 v[6:7], v[6:7], v[18:19], v[32:33]
	s_mov_b32 vcc_lo, s1
	s_mov_b32 s1, s15
	v_div_fmas_f64 v[12:13], v[12:13], v[20:21], v[36:37]
	s_mov_b32 vcc_lo, s2
	s_mov_b32 s2, s16
	s_delay_alu instid0(VALU_DEP_3) | instskip(SKIP_2) | instid1(VALU_DEP_4)
	v_div_fmas_f64 v[14:15], v[14:15], v[22:23], v[38:39]
	s_mov_b32 vcc_lo, s3
	v_div_fmas_f64 v[16:17], v[16:17], v[24:25], v[40:41]
	v_div_fixup_f64 v[6:7], v[6:7], v[8:9], v[3:4]
	v_mov_b32_e32 v3, 0
	v_div_fixup_f64 v[8:9], v[12:13], v[8:9], -s[10:11]
	v_div_fixup_f64 v[10:11], v[14:15], v[1:2], v[10:11]
	v_div_fixup_f64 v[12:13], v[16:17], v[1:2], -s[10:11]
	ds_store_b128 v3, v[6:9]
	global_store_b128 v3, v[10:13], s[6:7]
.LBB1_17:
	s_and_not1_b32 vcc_lo, exec_lo, s2
	s_cbranch_vccz .LBB1_24
; %bb.18:
	s_and_not1_b32 vcc_lo, exec_lo, s1
	s_cbranch_vccnz .LBB1_20
.LBB1_19:
	v_mov_b32_e32 v3, 0
	s_delay_alu instid0(VALU_DEP_1)
	v_mov_b32_e32 v4, v3
	s_waitcnt vmcnt(0) lgkmcnt(0)
	global_store_b128 v3, v[1:4], s[4:5]
.LBB1_20:
	s_or_b32 exec_lo, exec_lo, s23
	s_waitcnt vmcnt(0) lgkmcnt(0)
	s_waitcnt_vscnt null, 0x0
	s_barrier
	buffer_gl0_inv
	s_and_saveexec_b32 s1, s0
	s_cbranch_execz .LBB1_23
; %bb.21:
	v_mov_b32_e32 v1, 0
	s_lshl_b32 s0, s22, 7
	s_mov_b32 s1, 0
	ds_load_b128 v[1:4], v1
	.p2align	6
.LBB1_22:                               ; =>This Inner Loop Header: Depth=1
	v_ashrrev_i32_e32 v6, 31, v5
	v_add_nc_u32_e32 v0, 0x80, v0
	s_delay_alu instid0(VALU_DEP_2) | instskip(SKIP_1) | instid1(VALU_DEP_2)
	v_lshlrev_b64 v[6:7], 4, v[5:6]
	v_add_nc_u32_e32 v5, s0, v5
	v_add_co_u32 v12, vcc_lo, s12, v6
	s_delay_alu instid0(VALU_DEP_3)
	v_add_co_ci_u32_e32 v13, vcc_lo, s13, v7, vcc_lo
	v_cmp_le_i32_e32 vcc_lo, s14, v0
	global_load_b128 v[6:9], v[12:13], off
	s_or_b32 s1, vcc_lo, s1
	s_waitcnt vmcnt(0) lgkmcnt(0)
	v_mul_f64 v[10:11], v[3:4], v[8:9]
	v_mul_f64 v[14:15], v[1:2], v[8:9]
	s_delay_alu instid0(VALU_DEP_2) | instskip(NEXT) | instid1(VALU_DEP_2)
	v_fma_f64 v[8:9], v[1:2], v[6:7], -v[10:11]
	v_fma_f64 v[10:11], v[3:4], v[6:7], v[14:15]
	global_store_b128 v[12:13], v[8:11], off
	s_and_not1_b32 exec_lo, exec_lo, s1
	s_cbranch_execnz .LBB1_22
.LBB1_23:
	s_nop 0
	s_sendmsg sendmsg(MSG_DEALLOC_VGPRS)
	s_endpgm
.LBB1_24:
	v_dual_mov_b32 v3, s8 :: v_dual_mov_b32 v4, s9
	s_waitcnt vmcnt(0)
	flat_store_b64 v[3:4], v[1:2]
	v_mov_b32_e32 v1, 0
	v_mov_b32_e32 v2, 0x3ff00000
	s_branch .LBB1_19
	.section	.rodata,"a",@progbits
	.p2align	6, 0x0
	.amdhsa_kernel _ZN9rocsolver6v33100L18larfg_kernel_smallILi128E19rocblas_complex_numIdEidPS3_EEvT1_T3_llPT2_llS6_lS5_lPT0_l
		.amdhsa_group_segment_fixed_size 64
		.amdhsa_private_segment_fixed_size 0
		.amdhsa_kernarg_size 104
		.amdhsa_user_sgpr_count 14
		.amdhsa_user_sgpr_dispatch_ptr 0
		.amdhsa_user_sgpr_queue_ptr 0
		.amdhsa_user_sgpr_kernarg_segment_ptr 1
		.amdhsa_user_sgpr_dispatch_id 0
		.amdhsa_user_sgpr_private_segment_size 0
		.amdhsa_wavefront_size32 1
		.amdhsa_uses_dynamic_stack 0
		.amdhsa_enable_private_segment 0
		.amdhsa_system_sgpr_workgroup_id_x 1
		.amdhsa_system_sgpr_workgroup_id_y 0
		.amdhsa_system_sgpr_workgroup_id_z 1
		.amdhsa_system_sgpr_workgroup_info 0
		.amdhsa_system_vgpr_workitem_id 0
		.amdhsa_next_free_vgpr 42
		.amdhsa_next_free_sgpr 34
		.amdhsa_reserve_vcc 1
		.amdhsa_float_round_mode_32 0
		.amdhsa_float_round_mode_16_64 0
		.amdhsa_float_denorm_mode_32 3
		.amdhsa_float_denorm_mode_16_64 3
		.amdhsa_dx10_clamp 1
		.amdhsa_ieee_mode 1
		.amdhsa_fp16_overflow 0
		.amdhsa_workgroup_processor_mode 1
		.amdhsa_memory_ordered 1
		.amdhsa_forward_progress 0
		.amdhsa_shared_vgpr_count 0
		.amdhsa_exception_fp_ieee_invalid_op 0
		.amdhsa_exception_fp_denorm_src 0
		.amdhsa_exception_fp_ieee_div_zero 0
		.amdhsa_exception_fp_ieee_overflow 0
		.amdhsa_exception_fp_ieee_underflow 0
		.amdhsa_exception_fp_ieee_inexact 0
		.amdhsa_exception_int_div_zero 0
	.end_amdhsa_kernel
	.section	.text._ZN9rocsolver6v33100L18larfg_kernel_smallILi128E19rocblas_complex_numIdEidPS3_EEvT1_T3_llPT2_llS6_lS5_lPT0_l,"axG",@progbits,_ZN9rocsolver6v33100L18larfg_kernel_smallILi128E19rocblas_complex_numIdEidPS3_EEvT1_T3_llPT2_llS6_lS5_lPT0_l,comdat
.Lfunc_end1:
	.size	_ZN9rocsolver6v33100L18larfg_kernel_smallILi128E19rocblas_complex_numIdEidPS3_EEvT1_T3_llPT2_llS6_lS5_lPT0_l, .Lfunc_end1-_ZN9rocsolver6v33100L18larfg_kernel_smallILi128E19rocblas_complex_numIdEidPS3_EEvT1_T3_llPT2_llS6_lS5_lPT0_l
                                        ; -- End function
	.section	.AMDGPU.csdata,"",@progbits
; Kernel info:
; codeLenInByte = 2228
; NumSgprs: 36
; NumVgprs: 42
; ScratchSize: 0
; MemoryBound: 0
; FloatMode: 240
; IeeeMode: 1
; LDSByteSize: 64 bytes/workgroup (compile time only)
; SGPRBlocks: 4
; VGPRBlocks: 5
; NumSGPRsForWavesPerEU: 36
; NumVGPRsForWavesPerEU: 42
; Occupancy: 16
; WaveLimiterHint : 1
; COMPUTE_PGM_RSRC2:SCRATCH_EN: 0
; COMPUTE_PGM_RSRC2:USER_SGPR: 14
; COMPUTE_PGM_RSRC2:TRAP_HANDLER: 0
; COMPUTE_PGM_RSRC2:TGID_X_EN: 1
; COMPUTE_PGM_RSRC2:TGID_Y_EN: 0
; COMPUTE_PGM_RSRC2:TGID_Z_EN: 1
; COMPUTE_PGM_RSRC2:TIDIG_COMP_CNT: 0
	.section	.text._ZN9rocsolver6v33100L18larfg_kernel_smallILi256E19rocblas_complex_numIdEidPS3_EEvT1_T3_llPT2_llS6_lS5_lPT0_l,"axG",@progbits,_ZN9rocsolver6v33100L18larfg_kernel_smallILi256E19rocblas_complex_numIdEidPS3_EEvT1_T3_llPT2_llS6_lS5_lPT0_l,comdat
	.globl	_ZN9rocsolver6v33100L18larfg_kernel_smallILi256E19rocblas_complex_numIdEidPS3_EEvT1_T3_llPT2_llS6_lS5_lPT0_l ; -- Begin function _ZN9rocsolver6v33100L18larfg_kernel_smallILi256E19rocblas_complex_numIdEidPS3_EEvT1_T3_llPT2_llS6_lS5_lPT0_l
	.p2align	8
	.type	_ZN9rocsolver6v33100L18larfg_kernel_smallILi256E19rocblas_complex_numIdEidPS3_EEvT1_T3_llPT2_llS6_lS5_lPT0_l,@function
_ZN9rocsolver6v33100L18larfg_kernel_smallILi256E19rocblas_complex_numIdEidPS3_EEvT1_T3_llPT2_llS6_lS5_lPT0_l: ; @_ZN9rocsolver6v33100L18larfg_kernel_smallILi256E19rocblas_complex_numIdEidPS3_EEvT1_T3_llPT2_llS6_lS5_lPT0_l
; %bb.0:
	s_load_b512 s[16:31], s[0:1], 0x8
	s_ashr_i32 s33, s15, 31
	s_mov_b64 s[8:9], 0
	s_waitcnt lgkmcnt(0)
	s_cmp_eq_u64 s[22:23], 0
	s_cbranch_scc1 .LBB2_2
; %bb.1:
	s_mul_i32 s2, s15, s27
	s_mul_hi_u32 s3, s15, s26
	s_mul_i32 s4, s33, s26
	s_add_i32 s3, s3, s2
	s_mul_i32 s2, s15, s26
	s_add_i32 s3, s3, s4
	s_delay_alu instid0(SALU_CYCLE_1) | instskip(NEXT) | instid1(SALU_CYCLE_1)
	s_lshl_b64 s[2:3], s[2:3], 3
	s_add_u32 s4, s22, s2
	s_addc_u32 s5, s23, s3
	s_lshl_b64 s[2:3], s[24:25], 3
	s_delay_alu instid0(SALU_CYCLE_1)
	s_add_u32 s8, s4, s2
	s_addc_u32 s9, s5, s3
.LBB2_2:
	s_clause 0x3
	s_load_b128 s[4:7], s[0:1], 0x50
	s_load_b32 s22, s[0:1], 0x48
	s_load_b32 s14, s[0:1], 0x0
	s_load_b64 s[2:3], s[0:1], 0x60
	v_mov_b32_e32 v1, 0
	v_mov_b32_e32 v2, 0
	s_delay_alu instid0(VALU_DEP_1)
	v_dual_mov_b32 v4, v2 :: v_dual_mov_b32 v3, v1
	s_waitcnt lgkmcnt(0)
	s_mul_i32 s0, s15, s5
	s_mul_hi_u32 s1, s15, s4
	s_mul_i32 s5, s33, s4
	s_add_i32 s1, s1, s0
	s_mul_i32 s0, s15, s4
	s_add_i32 s1, s1, s5
	v_mul_lo_u32 v5, v0, s22
	s_lshl_b64 s[0:1], s[0:1], 4
	s_delay_alu instid0(SALU_CYCLE_1) | instskip(SKIP_2) | instid1(SALU_CYCLE_1)
	s_add_u32 s4, s28, s0
	s_addc_u32 s5, s29, s1
	s_lshl_b64 s[0:1], s[30:31], 4
	s_add_u32 s12, s4, s0
	s_addc_u32 s13, s5, s1
	s_add_i32 s14, s14, -1
	s_delay_alu instid0(SALU_CYCLE_1) | instskip(NEXT) | instid1(VALU_DEP_1)
	v_cmp_gt_i32_e64 s0, s14, v0
	s_and_saveexec_b32 s1, s0
	s_cbranch_execz .LBB2_6
; %bb.3:
	v_dual_mov_b32 v1, 0 :: v_dual_mov_b32 v8, v0
	v_mov_b32_e32 v2, 0
	v_mul_lo_u32 v6, v0, s22
	s_lshl_b32 s5, s22, 8
	s_mov_b32 s4, 0
	s_delay_alu instid0(VALU_DEP_2)
	v_dual_mov_b32 v4, v2 :: v_dual_mov_b32 v3, v1
	.p2align	6
.LBB2_4:                                ; =>This Inner Loop Header: Depth=1
	s_delay_alu instid0(VALU_DEP_2) | instskip(SKIP_1) | instid1(VALU_DEP_2)
	v_ashrrev_i32_e32 v7, 31, v6
	v_add_nc_u32_e32 v8, 0x100, v8
	v_lshlrev_b64 v[9:10], 4, v[6:7]
	v_add_nc_u32_e32 v6, s5, v6
	s_delay_alu instid0(VALU_DEP_2) | instskip(NEXT) | instid1(VALU_DEP_3)
	v_add_co_u32 v9, vcc_lo, s12, v9
	v_add_co_ci_u32_e32 v10, vcc_lo, s13, v10, vcc_lo
	v_cmp_le_i32_e32 vcc_lo, s14, v8
	global_load_b128 v[9:12], v[9:10], off
	s_or_b32 s4, vcc_lo, s4
	s_waitcnt vmcnt(0)
	v_mul_f64 v[13:14], v[11:12], v[11:12]
	v_mul_f64 v[15:16], v[9:10], v[11:12]
	s_delay_alu instid0(VALU_DEP_2) | instskip(NEXT) | instid1(VALU_DEP_2)
	v_fma_f64 v[13:14], v[9:10], v[9:10], v[13:14]
	v_fma_f64 v[9:10], v[9:10], v[11:12], -v[15:16]
	s_delay_alu instid0(VALU_DEP_2) | instskip(NEXT) | instid1(VALU_DEP_2)
	v_add_f64 v[3:4], v[3:4], v[13:14]
	v_add_f64 v[1:2], v[1:2], v[9:10]
	s_and_not1_b32 exec_lo, exec_lo, s4
	s_cbranch_execnz .LBB2_4
; %bb.5:
	s_or_b32 exec_lo, exec_lo, s4
.LBB2_6:
	s_delay_alu instid0(SALU_CYCLE_1) | instskip(SKIP_2) | instid1(VALU_DEP_1)
	s_or_b32 exec_lo, exec_lo, s1
	v_mbcnt_lo_u32_b32 v10, -1, 0
	s_mov_b32 s1, exec_lo
	v_cmp_ne_u32_e32 vcc_lo, 31, v10
	v_add_co_ci_u32_e32 v6, vcc_lo, 0, v10, vcc_lo
	v_cmp_gt_u32_e32 vcc_lo, 30, v10
	s_delay_alu instid0(VALU_DEP_2)
	v_lshlrev_b32_e32 v9, 2, v6
	ds_bpermute_b32 v6, v9, v3
	ds_bpermute_b32 v7, v9, v4
	ds_bpermute_b32 v8, v9, v1
	ds_bpermute_b32 v9, v9, v2
	s_waitcnt lgkmcnt(2)
	v_add_f64 v[3:4], v[3:4], v[6:7]
	v_cndmask_b32_e64 v6, 0, 1, vcc_lo
	s_waitcnt lgkmcnt(0)
	v_add_f64 v[1:2], v[1:2], v[8:9]
	v_cmp_gt_u32_e32 vcc_lo, 28, v10
	s_delay_alu instid0(VALU_DEP_3) | instskip(NEXT) | instid1(VALU_DEP_1)
	v_lshlrev_b32_e32 v6, 1, v6
	v_add_lshl_u32 v9, v6, v10, 2
	ds_bpermute_b32 v6, v9, v3
	ds_bpermute_b32 v7, v9, v4
	ds_bpermute_b32 v8, v9, v1
	ds_bpermute_b32 v9, v9, v2
	s_waitcnt lgkmcnt(2)
	v_add_f64 v[3:4], v[3:4], v[6:7]
	v_cndmask_b32_e64 v6, 0, 1, vcc_lo
	s_waitcnt lgkmcnt(0)
	v_add_f64 v[1:2], v[1:2], v[8:9]
	v_cmp_gt_u32_e32 vcc_lo, 24, v10
	s_delay_alu instid0(VALU_DEP_3) | instskip(NEXT) | instid1(VALU_DEP_1)
	v_lshlrev_b32_e32 v6, 2, v6
	v_add_lshl_u32 v9, v6, v10, 2
	;; [unrolled: 13-line block ×3, first 2 shown]
	ds_bpermute_b32 v6, v9, v3
	ds_bpermute_b32 v7, v9, v4
	;; [unrolled: 1-line block ×4, first 2 shown]
	s_waitcnt lgkmcnt(2)
	v_add_f64 v[3:4], v[3:4], v[6:7]
	s_waitcnt lgkmcnt(0)
	v_add_f64 v[6:7], v[1:2], v[8:9]
	v_cndmask_b32_e64 v1, 0, 1, vcc_lo
	s_delay_alu instid0(VALU_DEP_1) | instskip(NEXT) | instid1(VALU_DEP_1)
	v_lshlrev_b32_e32 v1, 4, v1
	v_add_lshl_u32 v9, v1, v10, 2
	ds_bpermute_b32 v1, v9, v3
	ds_bpermute_b32 v2, v9, v4
	;; [unrolled: 1-line block ×4, first 2 shown]
	s_waitcnt lgkmcnt(2)
	v_add_f64 v[1:2], v[3:4], v[1:2]
	s_waitcnt lgkmcnt(0)
	v_add_f64 v[3:4], v[6:7], v[8:9]
	v_and_b32_e32 v6, 31, v0
	s_delay_alu instid0(VALU_DEP_1)
	v_cmpx_eq_u32_e32 0, v6
	s_cbranch_execz .LBB2_8
; %bb.7:
	v_lshrrev_b32_e32 v6, 1, v0
	ds_store_b128 v6, v[1:4]
.LBB2_8:
	s_or_b32 exec_lo, exec_lo, s1
	v_cmp_eq_u32_e32 vcc_lo, 0, v0
	s_waitcnt lgkmcnt(0)
	s_barrier
	buffer_gl0_inv
	s_and_saveexec_b32 s1, vcc_lo
	s_cbranch_execz .LBB2_10
; %bb.9:
	v_mov_b32_e32 v14, 0
	ds_load_b128 v[6:9], v14 offset:16
	ds_load_b128 v[10:13], v14 offset:32
	s_waitcnt lgkmcnt(1)
	v_add_f64 v[1:2], v[1:2], v[6:7]
	v_add_f64 v[3:4], v[3:4], v[8:9]
	s_waitcnt lgkmcnt(0)
	s_delay_alu instid0(VALU_DEP_2) | instskip(NEXT) | instid1(VALU_DEP_2)
	v_add_f64 v[10:11], v[1:2], v[10:11]
	v_add_f64 v[12:13], v[3:4], v[12:13]
	ds_load_b128 v[1:4], v14 offset:48
	ds_load_b128 v[6:9], v14 offset:64
	s_waitcnt lgkmcnt(1)
	v_add_f64 v[1:2], v[10:11], v[1:2]
	v_add_f64 v[3:4], v[12:13], v[3:4]
	s_waitcnt lgkmcnt(0)
	s_delay_alu instid0(VALU_DEP_2) | instskip(NEXT) | instid1(VALU_DEP_2)
	v_add_f64 v[10:11], v[1:2], v[6:7]
	v_add_f64 v[12:13], v[3:4], v[8:9]
	;; [unrolled: 9-line block ×3, first 2 shown]
	ds_load_b128 v[1:4], v14 offset:112
	s_waitcnt lgkmcnt(0)
	v_add_f64 v[1:2], v[6:7], v[1:2]
	v_add_f64 v[3:4], v[8:9], v[3:4]
	ds_store_b128 v14, v[1:4]
.LBB2_10:
	s_or_b32 exec_lo, exec_lo, s1
	s_waitcnt lgkmcnt(0)
	s_barrier
	buffer_gl0_inv
	s_and_saveexec_b32 s23, vcc_lo
	s_cbranch_execz .LBB2_20
; %bb.11:
	s_mul_i32 s1, s15, s21
	s_mul_hi_u32 s4, s15, s20
	s_mul_i32 s5, s33, s20
	s_add_i32 s1, s4, s1
	s_mul_i32 s4, s15, s20
	s_add_i32 s5, s1, s5
	v_mov_b32_e32 v1, 0
	s_lshl_b64 s[4:5], s[4:5], 4
	s_delay_alu instid0(SALU_CYCLE_1)
	s_add_u32 s1, s16, s4
	s_addc_u32 s10, s17, s5
	s_lshl_b64 s[4:5], s[18:19], 4
	ds_load_b64 v[8:9], v1
	s_add_u32 s4, s1, s4
	s_addc_u32 s5, s10, s5
	s_mul_i32 s1, s15, s3
	s_load_b64 s[10:11], s[4:5], 0x8
	s_mul_hi_u32 s3, s15, s2
	s_delay_alu instid0(SALU_CYCLE_1)
	s_add_i32 s1, s3, s1
	s_mul_i32 s3, s33, s2
	s_mul_i32 s2, s15, s2
	s_add_i32 s3, s1, s3
	s_mov_b32 s1, 0
	s_lshl_b64 s[2:3], s[2:3], 4
	s_delay_alu instid0(SALU_CYCLE_1)
	s_add_u32 s6, s6, s2
	s_addc_u32 s7, s7, s3
	s_cmp_eq_u64 s[8:9], 0
	s_cselect_b32 s15, -1, 0
	s_cmp_lg_u64 s[8:9], 0
	s_waitcnt lgkmcnt(0)
	v_max_f64 v[2:3], v[8:9], v[8:9]
	s_cselect_b32 s16, -1, 0
	v_mul_f64 v[6:7], s[10:11], s[10:11]
	s_delay_alu instid0(VALU_DEP_1) | instskip(NEXT) | instid1(VALU_DEP_1)
	v_max_f64 v[2:3], v[2:3], v[6:7]
	v_cmp_nlt_f64_e32 vcc_lo, 0, v[2:3]
	s_cbranch_vccz .LBB2_14
; %bb.12:
	v_dual_mov_b32 v2, 0x3ff00000 :: v_dual_mov_b32 v3, v1
	v_mov_b32_e32 v4, v1
	s_mov_b32 s3, 0
	s_and_b32 vcc_lo, exec_lo, s16
	ds_store_b128 v1, v[1:4]
	v_mov_b32_e32 v2, v1
	global_store_b128 v1, v[1:4], s[6:7]
                                        ; implicit-def: $vgpr3_vgpr4
	s_cbranch_vccz .LBB2_15
; %bb.13:
	v_mov_b32_e32 v1, 0
	s_mov_b32 s2, -1
	global_load_b64 v[1:2], v1, s[4:5]
	s_and_b32 vcc_lo, exec_lo, s3
	s_cbranch_vccnz .LBB2_16
	s_branch .LBB2_17
.LBB2_14:
	s_mov_b32 s3, -1
.LBB2_15:
	s_mov_b32 s2, 0
                                        ; implicit-def: $vgpr1_vgpr2
	s_and_b32 vcc_lo, exec_lo, s3
	s_cbranch_vccz .LBB2_17
.LBB2_16:
	s_load_b64 s[2:3], s[4:5], 0x0
	s_waitcnt vmcnt(0) lgkmcnt(0)
	v_fma_f64 v[1:2], s[2:3], s[2:3], v[6:7]
	s_delay_alu instid0(VALU_DEP_1) | instskip(NEXT) | instid1(VALU_DEP_1)
	v_add_f64 v[1:2], v[8:9], v[1:2]
	v_cmp_gt_f64_e32 vcc_lo, 0x10000000, v[1:2]
	v_cndmask_b32_e64 v3, 0, 1, vcc_lo
	s_and_b32 s1, vcc_lo, exec_lo
	s_cselect_b32 s1, 0xffffff80, 0
	s_delay_alu instid0(VALU_DEP_1) | instskip(NEXT) | instid1(VALU_DEP_1)
	v_lshlrev_b32_e32 v3, 8, v3
	v_ldexp_f64 v[1:2], v[1:2], v3
	s_delay_alu instid0(VALU_DEP_1) | instskip(SKIP_4) | instid1(VALU_DEP_1)
	v_rsq_f64_e32 v[3:4], v[1:2]
	v_cmp_class_f64_e64 vcc_lo, v[1:2], 0x260
	s_waitcnt_depctr 0xfff
	v_mul_f64 v[8:9], v[1:2], v[3:4]
	v_mul_f64 v[3:4], v[3:4], 0.5
	v_fma_f64 v[10:11], -v[3:4], v[8:9], 0.5
	s_delay_alu instid0(VALU_DEP_1) | instskip(SKIP_1) | instid1(VALU_DEP_2)
	v_fma_f64 v[8:9], v[8:9], v[10:11], v[8:9]
	v_fma_f64 v[3:4], v[3:4], v[10:11], v[3:4]
	v_fma_f64 v[10:11], -v[8:9], v[8:9], v[1:2]
	s_delay_alu instid0(VALU_DEP_1) | instskip(NEXT) | instid1(VALU_DEP_1)
	v_fma_f64 v[8:9], v[10:11], v[3:4], v[8:9]
	v_fma_f64 v[10:11], -v[8:9], v[8:9], v[1:2]
	s_delay_alu instid0(VALU_DEP_1) | instskip(NEXT) | instid1(VALU_DEP_1)
	v_fma_f64 v[3:4], v[10:11], v[3:4], v[8:9]
	v_ldexp_f64 v[3:4], v[3:4], s1
	s_delay_alu instid0(VALU_DEP_1) | instskip(SKIP_1) | instid1(VALU_DEP_2)
	v_dual_cndmask_b32 v2, v4, v2 :: v_dual_cndmask_b32 v1, v3, v1
	v_cmp_ge_f64_e64 vcc_lo, s[2:3], 0
	v_xor_b32_e32 v3, 0x80000000, v2
	s_delay_alu instid0(VALU_DEP_1) | instskip(NEXT) | instid1(VALU_DEP_1)
	v_cndmask_b32_e32 v2, v2, v3, vcc_lo
	v_add_f64 v[3:4], s[2:3], -v[1:2]
	v_add_f64 v[10:11], v[1:2], -s[2:3]
	v_div_scale_f64 v[16:17], null, v[1:2], v[1:2], -s[10:11]
	s_delay_alu instid0(VALU_DEP_3) | instskip(NEXT) | instid1(VALU_DEP_3)
	v_fma_f64 v[8:9], v[3:4], v[3:4], v[6:7]
	v_div_scale_f64 v[14:15], null, v[1:2], v[1:2], v[10:11]
	s_delay_alu instid0(VALU_DEP_3) | instskip(NEXT) | instid1(VALU_DEP_2)
	v_rcp_f64_e32 v[24:25], v[16:17]
	v_div_scale_f64 v[6:7], null, v[8:9], v[8:9], v[3:4]
	v_div_scale_f64 v[12:13], null, v[8:9], v[8:9], -s[10:11]
	s_delay_alu instid0(VALU_DEP_3)
	v_rcp_f64_e32 v[22:23], v[14:15]
	s_waitcnt_depctr 0xfff
	v_fma_f64 v[32:33], -v[16:17], v[24:25], 1.0
	v_div_scale_f64 v[34:35], vcc_lo, v[3:4], v[8:9], v[3:4]
	v_rcp_f64_e32 v[18:19], v[6:7]
	v_rcp_f64_e32 v[20:21], v[12:13]
	s_delay_alu instid0(VALU_DEP_2)
	v_fma_f64 v[24:25], v[24:25], v[32:33], v[24:25]
	v_fma_f64 v[30:31], -v[14:15], v[22:23], 1.0
	s_waitcnt_depctr 0xfff
	v_fma_f64 v[26:27], -v[6:7], v[18:19], 1.0
	v_fma_f64 v[28:29], -v[12:13], v[20:21], 1.0
	;; [unrolled: 1-line block ×3, first 2 shown]
	v_fma_f64 v[22:23], v[22:23], v[30:31], v[22:23]
	s_delay_alu instid0(VALU_DEP_4) | instskip(NEXT) | instid1(VALU_DEP_4)
	v_fma_f64 v[18:19], v[18:19], v[26:27], v[18:19]
	v_fma_f64 v[20:21], v[20:21], v[28:29], v[20:21]
	s_delay_alu instid0(VALU_DEP_4) | instskip(NEXT) | instid1(VALU_DEP_4)
	v_fma_f64 v[24:25], v[24:25], v[32:33], v[24:25]
	v_fma_f64 v[30:31], -v[14:15], v[22:23], 1.0
	s_delay_alu instid0(VALU_DEP_4) | instskip(NEXT) | instid1(VALU_DEP_4)
	v_fma_f64 v[26:27], -v[6:7], v[18:19], 1.0
	v_fma_f64 v[28:29], -v[12:13], v[20:21], 1.0
	s_delay_alu instid0(VALU_DEP_3) | instskip(SKIP_1) | instid1(VALU_DEP_4)
	v_fma_f64 v[22:23], v[22:23], v[30:31], v[22:23]
	v_div_scale_f64 v[30:31], s3, -s[10:11], v[1:2], -s[10:11]
	v_fma_f64 v[18:19], v[18:19], v[26:27], v[18:19]
	v_div_scale_f64 v[26:27], s1, -s[10:11], v[8:9], -s[10:11]
	v_fma_f64 v[20:21], v[20:21], v[28:29], v[20:21]
	v_div_scale_f64 v[28:29], s2, v[10:11], v[1:2], v[10:11]
	v_mul_f64 v[40:41], v[30:31], v[24:25]
	v_mul_f64 v[32:33], v[34:35], v[18:19]
	s_delay_alu instid0(VALU_DEP_4) | instskip(NEXT) | instid1(VALU_DEP_4)
	v_mul_f64 v[36:37], v[26:27], v[20:21]
	v_mul_f64 v[38:39], v[28:29], v[22:23]
	s_delay_alu instid0(VALU_DEP_4) | instskip(NEXT) | instid1(VALU_DEP_4)
	v_fma_f64 v[16:17], -v[16:17], v[40:41], v[30:31]
	v_fma_f64 v[6:7], -v[6:7], v[32:33], v[34:35]
	s_delay_alu instid0(VALU_DEP_4) | instskip(NEXT) | instid1(VALU_DEP_4)
	v_fma_f64 v[12:13], -v[12:13], v[36:37], v[26:27]
	v_fma_f64 v[14:15], -v[14:15], v[38:39], v[28:29]
	s_delay_alu instid0(VALU_DEP_3) | instskip(SKIP_2) | instid1(VALU_DEP_3)
	v_div_fmas_f64 v[6:7], v[6:7], v[18:19], v[32:33]
	s_mov_b32 vcc_lo, s1
	s_mov_b32 s1, s15
	v_div_fmas_f64 v[12:13], v[12:13], v[20:21], v[36:37]
	s_mov_b32 vcc_lo, s2
	s_mov_b32 s2, s16
	s_delay_alu instid0(VALU_DEP_3) | instskip(SKIP_2) | instid1(VALU_DEP_4)
	v_div_fmas_f64 v[14:15], v[14:15], v[22:23], v[38:39]
	s_mov_b32 vcc_lo, s3
	v_div_fmas_f64 v[16:17], v[16:17], v[24:25], v[40:41]
	v_div_fixup_f64 v[6:7], v[6:7], v[8:9], v[3:4]
	v_mov_b32_e32 v3, 0
	v_div_fixup_f64 v[8:9], v[12:13], v[8:9], -s[10:11]
	v_div_fixup_f64 v[10:11], v[14:15], v[1:2], v[10:11]
	v_div_fixup_f64 v[12:13], v[16:17], v[1:2], -s[10:11]
	ds_store_b128 v3, v[6:9]
	global_store_b128 v3, v[10:13], s[6:7]
.LBB2_17:
	s_and_not1_b32 vcc_lo, exec_lo, s2
	s_cbranch_vccz .LBB2_24
; %bb.18:
	s_and_not1_b32 vcc_lo, exec_lo, s1
	s_cbranch_vccnz .LBB2_20
.LBB2_19:
	v_mov_b32_e32 v3, 0
	s_delay_alu instid0(VALU_DEP_1)
	v_mov_b32_e32 v4, v3
	s_waitcnt vmcnt(0) lgkmcnt(0)
	global_store_b128 v3, v[1:4], s[4:5]
.LBB2_20:
	s_or_b32 exec_lo, exec_lo, s23
	s_waitcnt vmcnt(0) lgkmcnt(0)
	s_waitcnt_vscnt null, 0x0
	s_barrier
	buffer_gl0_inv
	s_and_saveexec_b32 s1, s0
	s_cbranch_execz .LBB2_23
; %bb.21:
	v_mov_b32_e32 v1, 0
	s_lshl_b32 s0, s22, 8
	s_mov_b32 s1, 0
	ds_load_b128 v[1:4], v1
	.p2align	6
.LBB2_22:                               ; =>This Inner Loop Header: Depth=1
	v_ashrrev_i32_e32 v6, 31, v5
	v_add_nc_u32_e32 v0, 0x100, v0
	s_delay_alu instid0(VALU_DEP_2) | instskip(SKIP_1) | instid1(VALU_DEP_2)
	v_lshlrev_b64 v[6:7], 4, v[5:6]
	v_add_nc_u32_e32 v5, s0, v5
	v_add_co_u32 v12, vcc_lo, s12, v6
	s_delay_alu instid0(VALU_DEP_3)
	v_add_co_ci_u32_e32 v13, vcc_lo, s13, v7, vcc_lo
	v_cmp_le_i32_e32 vcc_lo, s14, v0
	global_load_b128 v[6:9], v[12:13], off
	s_or_b32 s1, vcc_lo, s1
	s_waitcnt vmcnt(0) lgkmcnt(0)
	v_mul_f64 v[10:11], v[3:4], v[8:9]
	v_mul_f64 v[14:15], v[1:2], v[8:9]
	s_delay_alu instid0(VALU_DEP_2) | instskip(NEXT) | instid1(VALU_DEP_2)
	v_fma_f64 v[8:9], v[1:2], v[6:7], -v[10:11]
	v_fma_f64 v[10:11], v[3:4], v[6:7], v[14:15]
	global_store_b128 v[12:13], v[8:11], off
	s_and_not1_b32 exec_lo, exec_lo, s1
	s_cbranch_execnz .LBB2_22
.LBB2_23:
	s_nop 0
	s_sendmsg sendmsg(MSG_DEALLOC_VGPRS)
	s_endpgm
.LBB2_24:
	v_dual_mov_b32 v3, s8 :: v_dual_mov_b32 v4, s9
	s_waitcnt vmcnt(0)
	flat_store_b64 v[3:4], v[1:2]
	v_mov_b32_e32 v1, 0
	v_mov_b32_e32 v2, 0x3ff00000
	s_branch .LBB2_19
	.section	.rodata,"a",@progbits
	.p2align	6, 0x0
	.amdhsa_kernel _ZN9rocsolver6v33100L18larfg_kernel_smallILi256E19rocblas_complex_numIdEidPS3_EEvT1_T3_llPT2_llS6_lS5_lPT0_l
		.amdhsa_group_segment_fixed_size 128
		.amdhsa_private_segment_fixed_size 0
		.amdhsa_kernarg_size 104
		.amdhsa_user_sgpr_count 14
		.amdhsa_user_sgpr_dispatch_ptr 0
		.amdhsa_user_sgpr_queue_ptr 0
		.amdhsa_user_sgpr_kernarg_segment_ptr 1
		.amdhsa_user_sgpr_dispatch_id 0
		.amdhsa_user_sgpr_private_segment_size 0
		.amdhsa_wavefront_size32 1
		.amdhsa_uses_dynamic_stack 0
		.amdhsa_enable_private_segment 0
		.amdhsa_system_sgpr_workgroup_id_x 1
		.amdhsa_system_sgpr_workgroup_id_y 0
		.amdhsa_system_sgpr_workgroup_id_z 1
		.amdhsa_system_sgpr_workgroup_info 0
		.amdhsa_system_vgpr_workitem_id 0
		.amdhsa_next_free_vgpr 42
		.amdhsa_next_free_sgpr 34
		.amdhsa_reserve_vcc 1
		.amdhsa_float_round_mode_32 0
		.amdhsa_float_round_mode_16_64 0
		.amdhsa_float_denorm_mode_32 3
		.amdhsa_float_denorm_mode_16_64 3
		.amdhsa_dx10_clamp 1
		.amdhsa_ieee_mode 1
		.amdhsa_fp16_overflow 0
		.amdhsa_workgroup_processor_mode 1
		.amdhsa_memory_ordered 1
		.amdhsa_forward_progress 0
		.amdhsa_shared_vgpr_count 0
		.amdhsa_exception_fp_ieee_invalid_op 0
		.amdhsa_exception_fp_denorm_src 0
		.amdhsa_exception_fp_ieee_div_zero 0
		.amdhsa_exception_fp_ieee_overflow 0
		.amdhsa_exception_fp_ieee_underflow 0
		.amdhsa_exception_fp_ieee_inexact 0
		.amdhsa_exception_int_div_zero 0
	.end_amdhsa_kernel
	.section	.text._ZN9rocsolver6v33100L18larfg_kernel_smallILi256E19rocblas_complex_numIdEidPS3_EEvT1_T3_llPT2_llS6_lS5_lPT0_l,"axG",@progbits,_ZN9rocsolver6v33100L18larfg_kernel_smallILi256E19rocblas_complex_numIdEidPS3_EEvT1_T3_llPT2_llS6_lS5_lPT0_l,comdat
.Lfunc_end2:
	.size	_ZN9rocsolver6v33100L18larfg_kernel_smallILi256E19rocblas_complex_numIdEidPS3_EEvT1_T3_llPT2_llS6_lS5_lPT0_l, .Lfunc_end2-_ZN9rocsolver6v33100L18larfg_kernel_smallILi256E19rocblas_complex_numIdEidPS3_EEvT1_T3_llPT2_llS6_lS5_lPT0_l
                                        ; -- End function
	.section	.AMDGPU.csdata,"",@progbits
; Kernel info:
; codeLenInByte = 2348
; NumSgprs: 36
; NumVgprs: 42
; ScratchSize: 0
; MemoryBound: 0
; FloatMode: 240
; IeeeMode: 1
; LDSByteSize: 128 bytes/workgroup (compile time only)
; SGPRBlocks: 4
; VGPRBlocks: 5
; NumSGPRsForWavesPerEU: 36
; NumVGPRsForWavesPerEU: 42
; Occupancy: 16
; WaveLimiterHint : 1
; COMPUTE_PGM_RSRC2:SCRATCH_EN: 0
; COMPUTE_PGM_RSRC2:USER_SGPR: 14
; COMPUTE_PGM_RSRC2:TRAP_HANDLER: 0
; COMPUTE_PGM_RSRC2:TGID_X_EN: 1
; COMPUTE_PGM_RSRC2:TGID_Y_EN: 0
; COMPUTE_PGM_RSRC2:TGID_Z_EN: 1
; COMPUTE_PGM_RSRC2:TIDIG_COMP_CNT: 0
	.section	.text._ZN9rocsolver6v33100L18larfg_kernel_smallILi512E19rocblas_complex_numIdEidPS3_EEvT1_T3_llPT2_llS6_lS5_lPT0_l,"axG",@progbits,_ZN9rocsolver6v33100L18larfg_kernel_smallILi512E19rocblas_complex_numIdEidPS3_EEvT1_T3_llPT2_llS6_lS5_lPT0_l,comdat
	.globl	_ZN9rocsolver6v33100L18larfg_kernel_smallILi512E19rocblas_complex_numIdEidPS3_EEvT1_T3_llPT2_llS6_lS5_lPT0_l ; -- Begin function _ZN9rocsolver6v33100L18larfg_kernel_smallILi512E19rocblas_complex_numIdEidPS3_EEvT1_T3_llPT2_llS6_lS5_lPT0_l
	.p2align	8
	.type	_ZN9rocsolver6v33100L18larfg_kernel_smallILi512E19rocblas_complex_numIdEidPS3_EEvT1_T3_llPT2_llS6_lS5_lPT0_l,@function
_ZN9rocsolver6v33100L18larfg_kernel_smallILi512E19rocblas_complex_numIdEidPS3_EEvT1_T3_llPT2_llS6_lS5_lPT0_l: ; @_ZN9rocsolver6v33100L18larfg_kernel_smallILi512E19rocblas_complex_numIdEidPS3_EEvT1_T3_llPT2_llS6_lS5_lPT0_l
; %bb.0:
	s_load_b512 s[16:31], s[0:1], 0x8
	s_ashr_i32 s33, s15, 31
	s_mov_b64 s[8:9], 0
	s_waitcnt lgkmcnt(0)
	s_cmp_eq_u64 s[22:23], 0
	s_cbranch_scc1 .LBB3_2
; %bb.1:
	s_mul_i32 s2, s15, s27
	s_mul_hi_u32 s3, s15, s26
	s_mul_i32 s4, s33, s26
	s_add_i32 s3, s3, s2
	s_mul_i32 s2, s15, s26
	s_add_i32 s3, s3, s4
	s_delay_alu instid0(SALU_CYCLE_1) | instskip(NEXT) | instid1(SALU_CYCLE_1)
	s_lshl_b64 s[2:3], s[2:3], 3
	s_add_u32 s4, s22, s2
	s_addc_u32 s5, s23, s3
	s_lshl_b64 s[2:3], s[24:25], 3
	s_delay_alu instid0(SALU_CYCLE_1)
	s_add_u32 s8, s4, s2
	s_addc_u32 s9, s5, s3
.LBB3_2:
	s_clause 0x3
	s_load_b128 s[4:7], s[0:1], 0x50
	s_load_b32 s22, s[0:1], 0x48
	s_load_b32 s14, s[0:1], 0x0
	s_load_b64 s[2:3], s[0:1], 0x60
	v_mov_b32_e32 v1, 0
	v_mov_b32_e32 v2, 0
	s_delay_alu instid0(VALU_DEP_1)
	v_dual_mov_b32 v4, v2 :: v_dual_mov_b32 v3, v1
	s_waitcnt lgkmcnt(0)
	s_mul_i32 s0, s15, s5
	s_mul_hi_u32 s1, s15, s4
	s_mul_i32 s5, s33, s4
	s_add_i32 s1, s1, s0
	s_mul_i32 s0, s15, s4
	s_add_i32 s1, s1, s5
	v_mul_lo_u32 v5, v0, s22
	s_lshl_b64 s[0:1], s[0:1], 4
	s_delay_alu instid0(SALU_CYCLE_1) | instskip(SKIP_2) | instid1(SALU_CYCLE_1)
	s_add_u32 s4, s28, s0
	s_addc_u32 s5, s29, s1
	s_lshl_b64 s[0:1], s[30:31], 4
	s_add_u32 s12, s4, s0
	s_addc_u32 s13, s5, s1
	s_add_i32 s14, s14, -1
	s_delay_alu instid0(SALU_CYCLE_1) | instskip(NEXT) | instid1(VALU_DEP_1)
	v_cmp_gt_i32_e64 s0, s14, v0
	s_and_saveexec_b32 s1, s0
	s_cbranch_execz .LBB3_6
; %bb.3:
	v_dual_mov_b32 v1, 0 :: v_dual_mov_b32 v8, v0
	v_mov_b32_e32 v2, 0
	v_mul_lo_u32 v6, v0, s22
	s_lshl_b32 s5, s22, 9
	s_mov_b32 s4, 0
	s_delay_alu instid0(VALU_DEP_2)
	v_dual_mov_b32 v4, v2 :: v_dual_mov_b32 v3, v1
	.p2align	6
.LBB3_4:                                ; =>This Inner Loop Header: Depth=1
	s_delay_alu instid0(VALU_DEP_2) | instskip(SKIP_1) | instid1(VALU_DEP_2)
	v_ashrrev_i32_e32 v7, 31, v6
	v_add_nc_u32_e32 v8, 0x200, v8
	v_lshlrev_b64 v[9:10], 4, v[6:7]
	v_add_nc_u32_e32 v6, s5, v6
	s_delay_alu instid0(VALU_DEP_2) | instskip(NEXT) | instid1(VALU_DEP_3)
	v_add_co_u32 v9, vcc_lo, s12, v9
	v_add_co_ci_u32_e32 v10, vcc_lo, s13, v10, vcc_lo
	v_cmp_le_i32_e32 vcc_lo, s14, v8
	global_load_b128 v[9:12], v[9:10], off
	s_or_b32 s4, vcc_lo, s4
	s_waitcnt vmcnt(0)
	v_mul_f64 v[13:14], v[11:12], v[11:12]
	v_mul_f64 v[15:16], v[9:10], v[11:12]
	s_delay_alu instid0(VALU_DEP_2) | instskip(NEXT) | instid1(VALU_DEP_2)
	v_fma_f64 v[13:14], v[9:10], v[9:10], v[13:14]
	v_fma_f64 v[9:10], v[9:10], v[11:12], -v[15:16]
	s_delay_alu instid0(VALU_DEP_2) | instskip(NEXT) | instid1(VALU_DEP_2)
	v_add_f64 v[3:4], v[3:4], v[13:14]
	v_add_f64 v[1:2], v[1:2], v[9:10]
	s_and_not1_b32 exec_lo, exec_lo, s4
	s_cbranch_execnz .LBB3_4
; %bb.5:
	s_or_b32 exec_lo, exec_lo, s4
.LBB3_6:
	s_delay_alu instid0(SALU_CYCLE_1) | instskip(SKIP_2) | instid1(VALU_DEP_1)
	s_or_b32 exec_lo, exec_lo, s1
	v_mbcnt_lo_u32_b32 v10, -1, 0
	s_mov_b32 s1, exec_lo
	v_cmp_ne_u32_e32 vcc_lo, 31, v10
	v_add_co_ci_u32_e32 v6, vcc_lo, 0, v10, vcc_lo
	v_cmp_gt_u32_e32 vcc_lo, 30, v10
	s_delay_alu instid0(VALU_DEP_2)
	v_lshlrev_b32_e32 v9, 2, v6
	ds_bpermute_b32 v6, v9, v3
	ds_bpermute_b32 v7, v9, v4
	ds_bpermute_b32 v8, v9, v1
	ds_bpermute_b32 v9, v9, v2
	s_waitcnt lgkmcnt(2)
	v_add_f64 v[3:4], v[3:4], v[6:7]
	v_cndmask_b32_e64 v6, 0, 1, vcc_lo
	s_waitcnt lgkmcnt(0)
	v_add_f64 v[1:2], v[1:2], v[8:9]
	v_cmp_gt_u32_e32 vcc_lo, 28, v10
	s_delay_alu instid0(VALU_DEP_3) | instskip(NEXT) | instid1(VALU_DEP_1)
	v_lshlrev_b32_e32 v6, 1, v6
	v_add_lshl_u32 v9, v6, v10, 2
	ds_bpermute_b32 v6, v9, v3
	ds_bpermute_b32 v7, v9, v4
	ds_bpermute_b32 v8, v9, v1
	ds_bpermute_b32 v9, v9, v2
	s_waitcnt lgkmcnt(2)
	v_add_f64 v[3:4], v[3:4], v[6:7]
	v_cndmask_b32_e64 v6, 0, 1, vcc_lo
	s_waitcnt lgkmcnt(0)
	v_add_f64 v[1:2], v[1:2], v[8:9]
	v_cmp_gt_u32_e32 vcc_lo, 24, v10
	s_delay_alu instid0(VALU_DEP_3) | instskip(NEXT) | instid1(VALU_DEP_1)
	v_lshlrev_b32_e32 v6, 2, v6
	v_add_lshl_u32 v9, v6, v10, 2
	;; [unrolled: 13-line block ×3, first 2 shown]
	ds_bpermute_b32 v6, v9, v3
	ds_bpermute_b32 v7, v9, v4
	;; [unrolled: 1-line block ×4, first 2 shown]
	s_waitcnt lgkmcnt(2)
	v_add_f64 v[3:4], v[3:4], v[6:7]
	s_waitcnt lgkmcnt(0)
	v_add_f64 v[6:7], v[1:2], v[8:9]
	v_cndmask_b32_e64 v1, 0, 1, vcc_lo
	s_delay_alu instid0(VALU_DEP_1) | instskip(NEXT) | instid1(VALU_DEP_1)
	v_lshlrev_b32_e32 v1, 4, v1
	v_add_lshl_u32 v9, v1, v10, 2
	ds_bpermute_b32 v1, v9, v3
	ds_bpermute_b32 v2, v9, v4
	;; [unrolled: 1-line block ×4, first 2 shown]
	s_waitcnt lgkmcnt(2)
	v_add_f64 v[1:2], v[3:4], v[1:2]
	s_waitcnt lgkmcnt(0)
	v_add_f64 v[3:4], v[6:7], v[8:9]
	v_and_b32_e32 v6, 31, v0
	s_delay_alu instid0(VALU_DEP_1)
	v_cmpx_eq_u32_e32 0, v6
	s_cbranch_execz .LBB3_8
; %bb.7:
	v_lshrrev_b32_e32 v6, 1, v0
	ds_store_b128 v6, v[1:4]
.LBB3_8:
	s_or_b32 exec_lo, exec_lo, s1
	v_cmp_eq_u32_e32 vcc_lo, 0, v0
	s_waitcnt lgkmcnt(0)
	s_barrier
	buffer_gl0_inv
	s_and_saveexec_b32 s1, vcc_lo
	s_cbranch_execz .LBB3_10
; %bb.9:
	v_mov_b32_e32 v14, 0
	ds_load_b128 v[6:9], v14 offset:16
	ds_load_b128 v[10:13], v14 offset:32
	s_waitcnt lgkmcnt(1)
	v_add_f64 v[1:2], v[1:2], v[6:7]
	v_add_f64 v[3:4], v[3:4], v[8:9]
	s_waitcnt lgkmcnt(0)
	s_delay_alu instid0(VALU_DEP_2) | instskip(NEXT) | instid1(VALU_DEP_2)
	v_add_f64 v[10:11], v[1:2], v[10:11]
	v_add_f64 v[12:13], v[3:4], v[12:13]
	ds_load_b128 v[1:4], v14 offset:48
	ds_load_b128 v[6:9], v14 offset:64
	s_waitcnt lgkmcnt(1)
	v_add_f64 v[1:2], v[10:11], v[1:2]
	v_add_f64 v[3:4], v[12:13], v[3:4]
	s_waitcnt lgkmcnt(0)
	s_delay_alu instid0(VALU_DEP_2) | instskip(NEXT) | instid1(VALU_DEP_2)
	v_add_f64 v[10:11], v[1:2], v[6:7]
	v_add_f64 v[12:13], v[3:4], v[8:9]
	;; [unrolled: 9-line block ×7, first 2 shown]
	ds_load_b128 v[1:4], v14 offset:240
	s_waitcnt lgkmcnt(0)
	v_add_f64 v[1:2], v[6:7], v[1:2]
	v_add_f64 v[3:4], v[8:9], v[3:4]
	ds_store_b128 v14, v[1:4]
.LBB3_10:
	s_or_b32 exec_lo, exec_lo, s1
	s_waitcnt lgkmcnt(0)
	s_barrier
	buffer_gl0_inv
	s_and_saveexec_b32 s23, vcc_lo
	s_cbranch_execz .LBB3_20
; %bb.11:
	s_mul_i32 s1, s15, s21
	s_mul_hi_u32 s4, s15, s20
	s_mul_i32 s5, s33, s20
	s_add_i32 s1, s4, s1
	s_mul_i32 s4, s15, s20
	s_add_i32 s5, s1, s5
	v_mov_b32_e32 v1, 0
	s_lshl_b64 s[4:5], s[4:5], 4
	s_delay_alu instid0(SALU_CYCLE_1)
	s_add_u32 s1, s16, s4
	s_addc_u32 s10, s17, s5
	s_lshl_b64 s[4:5], s[18:19], 4
	ds_load_b64 v[8:9], v1
	s_add_u32 s4, s1, s4
	s_addc_u32 s5, s10, s5
	s_mul_i32 s1, s15, s3
	s_load_b64 s[10:11], s[4:5], 0x8
	s_mul_hi_u32 s3, s15, s2
	s_delay_alu instid0(SALU_CYCLE_1)
	s_add_i32 s1, s3, s1
	s_mul_i32 s3, s33, s2
	s_mul_i32 s2, s15, s2
	s_add_i32 s3, s1, s3
	s_mov_b32 s1, 0
	s_lshl_b64 s[2:3], s[2:3], 4
	s_delay_alu instid0(SALU_CYCLE_1)
	s_add_u32 s6, s6, s2
	s_addc_u32 s7, s7, s3
	s_cmp_eq_u64 s[8:9], 0
	s_cselect_b32 s15, -1, 0
	s_cmp_lg_u64 s[8:9], 0
	s_waitcnt lgkmcnt(0)
	v_max_f64 v[2:3], v[8:9], v[8:9]
	s_cselect_b32 s16, -1, 0
	v_mul_f64 v[6:7], s[10:11], s[10:11]
	s_delay_alu instid0(VALU_DEP_1) | instskip(NEXT) | instid1(VALU_DEP_1)
	v_max_f64 v[2:3], v[2:3], v[6:7]
	v_cmp_nlt_f64_e32 vcc_lo, 0, v[2:3]
	s_cbranch_vccz .LBB3_14
; %bb.12:
	v_dual_mov_b32 v2, 0x3ff00000 :: v_dual_mov_b32 v3, v1
	v_mov_b32_e32 v4, v1
	s_mov_b32 s3, 0
	s_and_b32 vcc_lo, exec_lo, s16
	ds_store_b128 v1, v[1:4]
	v_mov_b32_e32 v2, v1
	global_store_b128 v1, v[1:4], s[6:7]
                                        ; implicit-def: $vgpr3_vgpr4
	s_cbranch_vccz .LBB3_15
; %bb.13:
	v_mov_b32_e32 v1, 0
	s_mov_b32 s2, -1
	global_load_b64 v[1:2], v1, s[4:5]
	s_and_b32 vcc_lo, exec_lo, s3
	s_cbranch_vccnz .LBB3_16
	s_branch .LBB3_17
.LBB3_14:
	s_mov_b32 s3, -1
.LBB3_15:
	s_mov_b32 s2, 0
                                        ; implicit-def: $vgpr1_vgpr2
	s_and_b32 vcc_lo, exec_lo, s3
	s_cbranch_vccz .LBB3_17
.LBB3_16:
	s_load_b64 s[2:3], s[4:5], 0x0
	s_waitcnt vmcnt(0) lgkmcnt(0)
	v_fma_f64 v[1:2], s[2:3], s[2:3], v[6:7]
	s_delay_alu instid0(VALU_DEP_1) | instskip(NEXT) | instid1(VALU_DEP_1)
	v_add_f64 v[1:2], v[8:9], v[1:2]
	v_cmp_gt_f64_e32 vcc_lo, 0x10000000, v[1:2]
	v_cndmask_b32_e64 v3, 0, 1, vcc_lo
	s_and_b32 s1, vcc_lo, exec_lo
	s_cselect_b32 s1, 0xffffff80, 0
	s_delay_alu instid0(VALU_DEP_1) | instskip(NEXT) | instid1(VALU_DEP_1)
	v_lshlrev_b32_e32 v3, 8, v3
	v_ldexp_f64 v[1:2], v[1:2], v3
	s_delay_alu instid0(VALU_DEP_1) | instskip(SKIP_4) | instid1(VALU_DEP_1)
	v_rsq_f64_e32 v[3:4], v[1:2]
	v_cmp_class_f64_e64 vcc_lo, v[1:2], 0x260
	s_waitcnt_depctr 0xfff
	v_mul_f64 v[8:9], v[1:2], v[3:4]
	v_mul_f64 v[3:4], v[3:4], 0.5
	v_fma_f64 v[10:11], -v[3:4], v[8:9], 0.5
	s_delay_alu instid0(VALU_DEP_1) | instskip(SKIP_1) | instid1(VALU_DEP_2)
	v_fma_f64 v[8:9], v[8:9], v[10:11], v[8:9]
	v_fma_f64 v[3:4], v[3:4], v[10:11], v[3:4]
	v_fma_f64 v[10:11], -v[8:9], v[8:9], v[1:2]
	s_delay_alu instid0(VALU_DEP_1) | instskip(NEXT) | instid1(VALU_DEP_1)
	v_fma_f64 v[8:9], v[10:11], v[3:4], v[8:9]
	v_fma_f64 v[10:11], -v[8:9], v[8:9], v[1:2]
	s_delay_alu instid0(VALU_DEP_1) | instskip(NEXT) | instid1(VALU_DEP_1)
	v_fma_f64 v[3:4], v[10:11], v[3:4], v[8:9]
	v_ldexp_f64 v[3:4], v[3:4], s1
	s_delay_alu instid0(VALU_DEP_1) | instskip(SKIP_1) | instid1(VALU_DEP_2)
	v_dual_cndmask_b32 v2, v4, v2 :: v_dual_cndmask_b32 v1, v3, v1
	v_cmp_ge_f64_e64 vcc_lo, s[2:3], 0
	v_xor_b32_e32 v3, 0x80000000, v2
	s_delay_alu instid0(VALU_DEP_1) | instskip(NEXT) | instid1(VALU_DEP_1)
	v_cndmask_b32_e32 v2, v2, v3, vcc_lo
	v_add_f64 v[3:4], s[2:3], -v[1:2]
	v_add_f64 v[10:11], v[1:2], -s[2:3]
	v_div_scale_f64 v[16:17], null, v[1:2], v[1:2], -s[10:11]
	s_delay_alu instid0(VALU_DEP_3) | instskip(NEXT) | instid1(VALU_DEP_3)
	v_fma_f64 v[8:9], v[3:4], v[3:4], v[6:7]
	v_div_scale_f64 v[14:15], null, v[1:2], v[1:2], v[10:11]
	s_delay_alu instid0(VALU_DEP_3) | instskip(NEXT) | instid1(VALU_DEP_2)
	v_rcp_f64_e32 v[24:25], v[16:17]
	v_div_scale_f64 v[6:7], null, v[8:9], v[8:9], v[3:4]
	v_div_scale_f64 v[12:13], null, v[8:9], v[8:9], -s[10:11]
	s_delay_alu instid0(VALU_DEP_3)
	v_rcp_f64_e32 v[22:23], v[14:15]
	s_waitcnt_depctr 0xfff
	v_fma_f64 v[32:33], -v[16:17], v[24:25], 1.0
	v_div_scale_f64 v[34:35], vcc_lo, v[3:4], v[8:9], v[3:4]
	v_rcp_f64_e32 v[18:19], v[6:7]
	v_rcp_f64_e32 v[20:21], v[12:13]
	s_delay_alu instid0(VALU_DEP_2)
	v_fma_f64 v[24:25], v[24:25], v[32:33], v[24:25]
	v_fma_f64 v[30:31], -v[14:15], v[22:23], 1.0
	s_waitcnt_depctr 0xfff
	v_fma_f64 v[26:27], -v[6:7], v[18:19], 1.0
	v_fma_f64 v[28:29], -v[12:13], v[20:21], 1.0
	v_fma_f64 v[32:33], -v[16:17], v[24:25], 1.0
	v_fma_f64 v[22:23], v[22:23], v[30:31], v[22:23]
	s_delay_alu instid0(VALU_DEP_4) | instskip(NEXT) | instid1(VALU_DEP_4)
	v_fma_f64 v[18:19], v[18:19], v[26:27], v[18:19]
	v_fma_f64 v[20:21], v[20:21], v[28:29], v[20:21]
	s_delay_alu instid0(VALU_DEP_4) | instskip(NEXT) | instid1(VALU_DEP_4)
	v_fma_f64 v[24:25], v[24:25], v[32:33], v[24:25]
	v_fma_f64 v[30:31], -v[14:15], v[22:23], 1.0
	s_delay_alu instid0(VALU_DEP_4) | instskip(NEXT) | instid1(VALU_DEP_4)
	v_fma_f64 v[26:27], -v[6:7], v[18:19], 1.0
	v_fma_f64 v[28:29], -v[12:13], v[20:21], 1.0
	s_delay_alu instid0(VALU_DEP_3) | instskip(SKIP_1) | instid1(VALU_DEP_4)
	v_fma_f64 v[22:23], v[22:23], v[30:31], v[22:23]
	v_div_scale_f64 v[30:31], s3, -s[10:11], v[1:2], -s[10:11]
	v_fma_f64 v[18:19], v[18:19], v[26:27], v[18:19]
	v_div_scale_f64 v[26:27], s1, -s[10:11], v[8:9], -s[10:11]
	v_fma_f64 v[20:21], v[20:21], v[28:29], v[20:21]
	v_div_scale_f64 v[28:29], s2, v[10:11], v[1:2], v[10:11]
	v_mul_f64 v[40:41], v[30:31], v[24:25]
	v_mul_f64 v[32:33], v[34:35], v[18:19]
	s_delay_alu instid0(VALU_DEP_4) | instskip(NEXT) | instid1(VALU_DEP_4)
	v_mul_f64 v[36:37], v[26:27], v[20:21]
	v_mul_f64 v[38:39], v[28:29], v[22:23]
	s_delay_alu instid0(VALU_DEP_4) | instskip(NEXT) | instid1(VALU_DEP_4)
	v_fma_f64 v[16:17], -v[16:17], v[40:41], v[30:31]
	v_fma_f64 v[6:7], -v[6:7], v[32:33], v[34:35]
	s_delay_alu instid0(VALU_DEP_4) | instskip(NEXT) | instid1(VALU_DEP_4)
	v_fma_f64 v[12:13], -v[12:13], v[36:37], v[26:27]
	v_fma_f64 v[14:15], -v[14:15], v[38:39], v[28:29]
	s_delay_alu instid0(VALU_DEP_3) | instskip(SKIP_2) | instid1(VALU_DEP_3)
	v_div_fmas_f64 v[6:7], v[6:7], v[18:19], v[32:33]
	s_mov_b32 vcc_lo, s1
	s_mov_b32 s1, s15
	v_div_fmas_f64 v[12:13], v[12:13], v[20:21], v[36:37]
	s_mov_b32 vcc_lo, s2
	s_mov_b32 s2, s16
	s_delay_alu instid0(VALU_DEP_3) | instskip(SKIP_2) | instid1(VALU_DEP_4)
	v_div_fmas_f64 v[14:15], v[14:15], v[22:23], v[38:39]
	s_mov_b32 vcc_lo, s3
	v_div_fmas_f64 v[16:17], v[16:17], v[24:25], v[40:41]
	v_div_fixup_f64 v[6:7], v[6:7], v[8:9], v[3:4]
	v_mov_b32_e32 v3, 0
	v_div_fixup_f64 v[8:9], v[12:13], v[8:9], -s[10:11]
	v_div_fixup_f64 v[10:11], v[14:15], v[1:2], v[10:11]
	v_div_fixup_f64 v[12:13], v[16:17], v[1:2], -s[10:11]
	ds_store_b128 v3, v[6:9]
	global_store_b128 v3, v[10:13], s[6:7]
.LBB3_17:
	s_and_not1_b32 vcc_lo, exec_lo, s2
	s_cbranch_vccz .LBB3_24
; %bb.18:
	s_and_not1_b32 vcc_lo, exec_lo, s1
	s_cbranch_vccnz .LBB3_20
.LBB3_19:
	v_mov_b32_e32 v3, 0
	s_delay_alu instid0(VALU_DEP_1)
	v_mov_b32_e32 v4, v3
	s_waitcnt vmcnt(0) lgkmcnt(0)
	global_store_b128 v3, v[1:4], s[4:5]
.LBB3_20:
	s_or_b32 exec_lo, exec_lo, s23
	s_waitcnt vmcnt(0) lgkmcnt(0)
	s_waitcnt_vscnt null, 0x0
	s_barrier
	buffer_gl0_inv
	s_and_saveexec_b32 s1, s0
	s_cbranch_execz .LBB3_23
; %bb.21:
	v_mov_b32_e32 v1, 0
	s_lshl_b32 s0, s22, 9
	s_mov_b32 s1, 0
	ds_load_b128 v[1:4], v1
	.p2align	6
.LBB3_22:                               ; =>This Inner Loop Header: Depth=1
	v_ashrrev_i32_e32 v6, 31, v5
	v_add_nc_u32_e32 v0, 0x200, v0
	s_delay_alu instid0(VALU_DEP_2) | instskip(SKIP_1) | instid1(VALU_DEP_2)
	v_lshlrev_b64 v[6:7], 4, v[5:6]
	v_add_nc_u32_e32 v5, s0, v5
	v_add_co_u32 v12, vcc_lo, s12, v6
	s_delay_alu instid0(VALU_DEP_3)
	v_add_co_ci_u32_e32 v13, vcc_lo, s13, v7, vcc_lo
	v_cmp_le_i32_e32 vcc_lo, s14, v0
	global_load_b128 v[6:9], v[12:13], off
	s_or_b32 s1, vcc_lo, s1
	s_waitcnt vmcnt(0) lgkmcnt(0)
	v_mul_f64 v[10:11], v[3:4], v[8:9]
	v_mul_f64 v[14:15], v[1:2], v[8:9]
	s_delay_alu instid0(VALU_DEP_2) | instskip(NEXT) | instid1(VALU_DEP_2)
	v_fma_f64 v[8:9], v[1:2], v[6:7], -v[10:11]
	v_fma_f64 v[10:11], v[3:4], v[6:7], v[14:15]
	global_store_b128 v[12:13], v[8:11], off
	s_and_not1_b32 exec_lo, exec_lo, s1
	s_cbranch_execnz .LBB3_22
.LBB3_23:
	s_nop 0
	s_sendmsg sendmsg(MSG_DEALLOC_VGPRS)
	s_endpgm
.LBB3_24:
	v_dual_mov_b32 v3, s8 :: v_dual_mov_b32 v4, s9
	s_waitcnt vmcnt(0)
	flat_store_b64 v[3:4], v[1:2]
	v_mov_b32_e32 v1, 0
	v_mov_b32_e32 v2, 0x3ff00000
	s_branch .LBB3_19
	.section	.rodata,"a",@progbits
	.p2align	6, 0x0
	.amdhsa_kernel _ZN9rocsolver6v33100L18larfg_kernel_smallILi512E19rocblas_complex_numIdEidPS3_EEvT1_T3_llPT2_llS6_lS5_lPT0_l
		.amdhsa_group_segment_fixed_size 256
		.amdhsa_private_segment_fixed_size 0
		.amdhsa_kernarg_size 104
		.amdhsa_user_sgpr_count 14
		.amdhsa_user_sgpr_dispatch_ptr 0
		.amdhsa_user_sgpr_queue_ptr 0
		.amdhsa_user_sgpr_kernarg_segment_ptr 1
		.amdhsa_user_sgpr_dispatch_id 0
		.amdhsa_user_sgpr_private_segment_size 0
		.amdhsa_wavefront_size32 1
		.amdhsa_uses_dynamic_stack 0
		.amdhsa_enable_private_segment 0
		.amdhsa_system_sgpr_workgroup_id_x 1
		.amdhsa_system_sgpr_workgroup_id_y 0
		.amdhsa_system_sgpr_workgroup_id_z 1
		.amdhsa_system_sgpr_workgroup_info 0
		.amdhsa_system_vgpr_workitem_id 0
		.amdhsa_next_free_vgpr 42
		.amdhsa_next_free_sgpr 34
		.amdhsa_reserve_vcc 1
		.amdhsa_float_round_mode_32 0
		.amdhsa_float_round_mode_16_64 0
		.amdhsa_float_denorm_mode_32 3
		.amdhsa_float_denorm_mode_16_64 3
		.amdhsa_dx10_clamp 1
		.amdhsa_ieee_mode 1
		.amdhsa_fp16_overflow 0
		.amdhsa_workgroup_processor_mode 1
		.amdhsa_memory_ordered 1
		.amdhsa_forward_progress 0
		.amdhsa_shared_vgpr_count 0
		.amdhsa_exception_fp_ieee_invalid_op 0
		.amdhsa_exception_fp_denorm_src 0
		.amdhsa_exception_fp_ieee_div_zero 0
		.amdhsa_exception_fp_ieee_overflow 0
		.amdhsa_exception_fp_ieee_underflow 0
		.amdhsa_exception_fp_ieee_inexact 0
		.amdhsa_exception_int_div_zero 0
	.end_amdhsa_kernel
	.section	.text._ZN9rocsolver6v33100L18larfg_kernel_smallILi512E19rocblas_complex_numIdEidPS3_EEvT1_T3_llPT2_llS6_lS5_lPT0_l,"axG",@progbits,_ZN9rocsolver6v33100L18larfg_kernel_smallILi512E19rocblas_complex_numIdEidPS3_EEvT1_T3_llPT2_llS6_lS5_lPT0_l,comdat
.Lfunc_end3:
	.size	_ZN9rocsolver6v33100L18larfg_kernel_smallILi512E19rocblas_complex_numIdEidPS3_EEvT1_T3_llPT2_llS6_lS5_lPT0_l, .Lfunc_end3-_ZN9rocsolver6v33100L18larfg_kernel_smallILi512E19rocblas_complex_numIdEidPS3_EEvT1_T3_llPT2_llS6_lS5_lPT0_l
                                        ; -- End function
	.section	.AMDGPU.csdata,"",@progbits
; Kernel info:
; codeLenInByte = 2588
; NumSgprs: 36
; NumVgprs: 42
; ScratchSize: 0
; MemoryBound: 0
; FloatMode: 240
; IeeeMode: 1
; LDSByteSize: 256 bytes/workgroup (compile time only)
; SGPRBlocks: 4
; VGPRBlocks: 5
; NumSGPRsForWavesPerEU: 36
; NumVGPRsForWavesPerEU: 42
; Occupancy: 16
; WaveLimiterHint : 1
; COMPUTE_PGM_RSRC2:SCRATCH_EN: 0
; COMPUTE_PGM_RSRC2:USER_SGPR: 14
; COMPUTE_PGM_RSRC2:TRAP_HANDLER: 0
; COMPUTE_PGM_RSRC2:TGID_X_EN: 1
; COMPUTE_PGM_RSRC2:TGID_Y_EN: 0
; COMPUTE_PGM_RSRC2:TGID_Z_EN: 1
; COMPUTE_PGM_RSRC2:TIDIG_COMP_CNT: 0
	.section	.text._ZN9rocsolver6v33100L18larfg_kernel_smallILi1024E19rocblas_complex_numIdEidPS3_EEvT1_T3_llPT2_llS6_lS5_lPT0_l,"axG",@progbits,_ZN9rocsolver6v33100L18larfg_kernel_smallILi1024E19rocblas_complex_numIdEidPS3_EEvT1_T3_llPT2_llS6_lS5_lPT0_l,comdat
	.globl	_ZN9rocsolver6v33100L18larfg_kernel_smallILi1024E19rocblas_complex_numIdEidPS3_EEvT1_T3_llPT2_llS6_lS5_lPT0_l ; -- Begin function _ZN9rocsolver6v33100L18larfg_kernel_smallILi1024E19rocblas_complex_numIdEidPS3_EEvT1_T3_llPT2_llS6_lS5_lPT0_l
	.p2align	8
	.type	_ZN9rocsolver6v33100L18larfg_kernel_smallILi1024E19rocblas_complex_numIdEidPS3_EEvT1_T3_llPT2_llS6_lS5_lPT0_l,@function
_ZN9rocsolver6v33100L18larfg_kernel_smallILi1024E19rocblas_complex_numIdEidPS3_EEvT1_T3_llPT2_llS6_lS5_lPT0_l: ; @_ZN9rocsolver6v33100L18larfg_kernel_smallILi1024E19rocblas_complex_numIdEidPS3_EEvT1_T3_llPT2_llS6_lS5_lPT0_l
; %bb.0:
	s_load_b512 s[16:31], s[0:1], 0x8
	s_ashr_i32 s33, s15, 31
	s_mov_b64 s[8:9], 0
	s_waitcnt lgkmcnt(0)
	s_cmp_eq_u64 s[22:23], 0
	s_cbranch_scc1 .LBB4_2
; %bb.1:
	s_mul_i32 s2, s15, s27
	s_mul_hi_u32 s3, s15, s26
	s_mul_i32 s4, s33, s26
	s_add_i32 s3, s3, s2
	s_mul_i32 s2, s15, s26
	s_add_i32 s3, s3, s4
	s_delay_alu instid0(SALU_CYCLE_1) | instskip(NEXT) | instid1(SALU_CYCLE_1)
	s_lshl_b64 s[2:3], s[2:3], 3
	s_add_u32 s4, s22, s2
	s_addc_u32 s5, s23, s3
	s_lshl_b64 s[2:3], s[24:25], 3
	s_delay_alu instid0(SALU_CYCLE_1)
	s_add_u32 s8, s4, s2
	s_addc_u32 s9, s5, s3
.LBB4_2:
	s_clause 0x3
	s_load_b128 s[4:7], s[0:1], 0x50
	s_load_b32 s22, s[0:1], 0x48
	s_load_b32 s14, s[0:1], 0x0
	s_load_b64 s[2:3], s[0:1], 0x60
	v_mov_b32_e32 v1, 0
	v_mov_b32_e32 v2, 0
	s_delay_alu instid0(VALU_DEP_1)
	v_dual_mov_b32 v4, v2 :: v_dual_mov_b32 v3, v1
	s_waitcnt lgkmcnt(0)
	s_mul_i32 s0, s15, s5
	s_mul_hi_u32 s1, s15, s4
	s_mul_i32 s5, s33, s4
	s_add_i32 s1, s1, s0
	s_mul_i32 s0, s15, s4
	s_add_i32 s1, s1, s5
	v_mul_lo_u32 v5, v0, s22
	s_lshl_b64 s[0:1], s[0:1], 4
	s_delay_alu instid0(SALU_CYCLE_1) | instskip(SKIP_2) | instid1(SALU_CYCLE_1)
	s_add_u32 s4, s28, s0
	s_addc_u32 s5, s29, s1
	s_lshl_b64 s[0:1], s[30:31], 4
	s_add_u32 s12, s4, s0
	s_addc_u32 s13, s5, s1
	s_add_i32 s14, s14, -1
	s_delay_alu instid0(SALU_CYCLE_1) | instskip(NEXT) | instid1(VALU_DEP_1)
	v_cmp_gt_i32_e64 s0, s14, v0
	s_and_saveexec_b32 s1, s0
	s_cbranch_execz .LBB4_6
; %bb.3:
	v_dual_mov_b32 v1, 0 :: v_dual_mov_b32 v8, v0
	v_mov_b32_e32 v2, 0
	v_mul_lo_u32 v6, v0, s22
	s_lshl_b32 s5, s22, 10
	s_mov_b32 s4, 0
	s_delay_alu instid0(VALU_DEP_2)
	v_dual_mov_b32 v4, v2 :: v_dual_mov_b32 v3, v1
	.p2align	6
.LBB4_4:                                ; =>This Inner Loop Header: Depth=1
	s_delay_alu instid0(VALU_DEP_2) | instskip(SKIP_1) | instid1(VALU_DEP_2)
	v_ashrrev_i32_e32 v7, 31, v6
	v_add_nc_u32_e32 v8, 0x400, v8
	v_lshlrev_b64 v[9:10], 4, v[6:7]
	v_add_nc_u32_e32 v6, s5, v6
	s_delay_alu instid0(VALU_DEP_2) | instskip(NEXT) | instid1(VALU_DEP_3)
	v_add_co_u32 v9, vcc_lo, s12, v9
	v_add_co_ci_u32_e32 v10, vcc_lo, s13, v10, vcc_lo
	v_cmp_le_i32_e32 vcc_lo, s14, v8
	global_load_b128 v[9:12], v[9:10], off
	s_or_b32 s4, vcc_lo, s4
	s_waitcnt vmcnt(0)
	v_mul_f64 v[13:14], v[11:12], v[11:12]
	v_mul_f64 v[15:16], v[9:10], v[11:12]
	s_delay_alu instid0(VALU_DEP_2) | instskip(NEXT) | instid1(VALU_DEP_2)
	v_fma_f64 v[13:14], v[9:10], v[9:10], v[13:14]
	v_fma_f64 v[9:10], v[9:10], v[11:12], -v[15:16]
	s_delay_alu instid0(VALU_DEP_2) | instskip(NEXT) | instid1(VALU_DEP_2)
	v_add_f64 v[3:4], v[3:4], v[13:14]
	v_add_f64 v[1:2], v[1:2], v[9:10]
	s_and_not1_b32 exec_lo, exec_lo, s4
	s_cbranch_execnz .LBB4_4
; %bb.5:
	s_or_b32 exec_lo, exec_lo, s4
.LBB4_6:
	s_delay_alu instid0(SALU_CYCLE_1) | instskip(SKIP_2) | instid1(VALU_DEP_1)
	s_or_b32 exec_lo, exec_lo, s1
	v_mbcnt_lo_u32_b32 v10, -1, 0
	s_mov_b32 s1, exec_lo
	v_cmp_ne_u32_e32 vcc_lo, 31, v10
	v_add_co_ci_u32_e32 v6, vcc_lo, 0, v10, vcc_lo
	v_cmp_gt_u32_e32 vcc_lo, 30, v10
	s_delay_alu instid0(VALU_DEP_2)
	v_lshlrev_b32_e32 v9, 2, v6
	ds_bpermute_b32 v6, v9, v3
	ds_bpermute_b32 v7, v9, v4
	ds_bpermute_b32 v8, v9, v1
	ds_bpermute_b32 v9, v9, v2
	s_waitcnt lgkmcnt(2)
	v_add_f64 v[3:4], v[3:4], v[6:7]
	v_cndmask_b32_e64 v6, 0, 1, vcc_lo
	s_waitcnt lgkmcnt(0)
	v_add_f64 v[1:2], v[1:2], v[8:9]
	v_cmp_gt_u32_e32 vcc_lo, 28, v10
	s_delay_alu instid0(VALU_DEP_3) | instskip(NEXT) | instid1(VALU_DEP_1)
	v_lshlrev_b32_e32 v6, 1, v6
	v_add_lshl_u32 v9, v6, v10, 2
	ds_bpermute_b32 v6, v9, v3
	ds_bpermute_b32 v7, v9, v4
	ds_bpermute_b32 v8, v9, v1
	ds_bpermute_b32 v9, v9, v2
	s_waitcnt lgkmcnt(2)
	v_add_f64 v[3:4], v[3:4], v[6:7]
	v_cndmask_b32_e64 v6, 0, 1, vcc_lo
	s_waitcnt lgkmcnt(0)
	v_add_f64 v[1:2], v[1:2], v[8:9]
	v_cmp_gt_u32_e32 vcc_lo, 24, v10
	s_delay_alu instid0(VALU_DEP_3) | instskip(NEXT) | instid1(VALU_DEP_1)
	v_lshlrev_b32_e32 v6, 2, v6
	v_add_lshl_u32 v9, v6, v10, 2
	;; [unrolled: 13-line block ×3, first 2 shown]
	ds_bpermute_b32 v6, v9, v3
	ds_bpermute_b32 v7, v9, v4
	;; [unrolled: 1-line block ×4, first 2 shown]
	s_waitcnt lgkmcnt(2)
	v_add_f64 v[3:4], v[3:4], v[6:7]
	s_waitcnt lgkmcnt(0)
	v_add_f64 v[6:7], v[1:2], v[8:9]
	v_cndmask_b32_e64 v1, 0, 1, vcc_lo
	s_delay_alu instid0(VALU_DEP_1) | instskip(NEXT) | instid1(VALU_DEP_1)
	v_lshlrev_b32_e32 v1, 4, v1
	v_add_lshl_u32 v9, v1, v10, 2
	ds_bpermute_b32 v1, v9, v3
	ds_bpermute_b32 v2, v9, v4
	;; [unrolled: 1-line block ×4, first 2 shown]
	s_waitcnt lgkmcnt(2)
	v_add_f64 v[1:2], v[3:4], v[1:2]
	s_waitcnt lgkmcnt(0)
	v_add_f64 v[3:4], v[6:7], v[8:9]
	v_and_b32_e32 v6, 31, v0
	s_delay_alu instid0(VALU_DEP_1)
	v_cmpx_eq_u32_e32 0, v6
	s_cbranch_execz .LBB4_8
; %bb.7:
	v_lshrrev_b32_e32 v6, 1, v0
	ds_store_b128 v6, v[1:4]
.LBB4_8:
	s_or_b32 exec_lo, exec_lo, s1
	v_cmp_eq_u32_e32 vcc_lo, 0, v0
	s_waitcnt lgkmcnt(0)
	s_barrier
	buffer_gl0_inv
	s_and_saveexec_b32 s1, vcc_lo
	s_cbranch_execz .LBB4_10
; %bb.9:
	v_mov_b32_e32 v14, 0
	ds_load_b128 v[6:9], v14 offset:16
	ds_load_b128 v[10:13], v14 offset:32
	s_waitcnt lgkmcnt(1)
	v_add_f64 v[1:2], v[1:2], v[6:7]
	v_add_f64 v[3:4], v[3:4], v[8:9]
	s_waitcnt lgkmcnt(0)
	s_delay_alu instid0(VALU_DEP_2) | instskip(NEXT) | instid1(VALU_DEP_2)
	v_add_f64 v[10:11], v[1:2], v[10:11]
	v_add_f64 v[12:13], v[3:4], v[12:13]
	ds_load_b128 v[1:4], v14 offset:48
	ds_load_b128 v[6:9], v14 offset:64
	s_waitcnt lgkmcnt(1)
	v_add_f64 v[1:2], v[10:11], v[1:2]
	v_add_f64 v[3:4], v[12:13], v[3:4]
	s_waitcnt lgkmcnt(0)
	s_delay_alu instid0(VALU_DEP_2) | instskip(NEXT) | instid1(VALU_DEP_2)
	v_add_f64 v[10:11], v[1:2], v[6:7]
	v_add_f64 v[12:13], v[3:4], v[8:9]
	;; [unrolled: 9-line block ×15, first 2 shown]
	ds_load_b128 v[1:4], v14 offset:496
	s_waitcnt lgkmcnt(0)
	v_add_f64 v[1:2], v[6:7], v[1:2]
	v_add_f64 v[3:4], v[8:9], v[3:4]
	ds_store_b128 v14, v[1:4]
.LBB4_10:
	s_or_b32 exec_lo, exec_lo, s1
	s_waitcnt lgkmcnt(0)
	s_barrier
	buffer_gl0_inv
	s_and_saveexec_b32 s23, vcc_lo
	s_cbranch_execz .LBB4_20
; %bb.11:
	s_mul_i32 s1, s15, s21
	s_mul_hi_u32 s4, s15, s20
	s_mul_i32 s5, s33, s20
	s_add_i32 s1, s4, s1
	s_mul_i32 s4, s15, s20
	s_add_i32 s5, s1, s5
	v_mov_b32_e32 v1, 0
	s_lshl_b64 s[4:5], s[4:5], 4
	s_delay_alu instid0(SALU_CYCLE_1)
	s_add_u32 s1, s16, s4
	s_addc_u32 s10, s17, s5
	s_lshl_b64 s[4:5], s[18:19], 4
	ds_load_b64 v[8:9], v1
	s_add_u32 s4, s1, s4
	s_addc_u32 s5, s10, s5
	s_mul_i32 s1, s15, s3
	s_load_b64 s[10:11], s[4:5], 0x8
	s_mul_hi_u32 s3, s15, s2
	s_delay_alu instid0(SALU_CYCLE_1)
	s_add_i32 s1, s3, s1
	s_mul_i32 s3, s33, s2
	s_mul_i32 s2, s15, s2
	s_add_i32 s3, s1, s3
	s_mov_b32 s1, 0
	s_lshl_b64 s[2:3], s[2:3], 4
	s_delay_alu instid0(SALU_CYCLE_1)
	s_add_u32 s6, s6, s2
	s_addc_u32 s7, s7, s3
	s_cmp_eq_u64 s[8:9], 0
	s_cselect_b32 s15, -1, 0
	s_cmp_lg_u64 s[8:9], 0
	s_waitcnt lgkmcnt(0)
	v_max_f64 v[2:3], v[8:9], v[8:9]
	s_cselect_b32 s16, -1, 0
	v_mul_f64 v[6:7], s[10:11], s[10:11]
	s_delay_alu instid0(VALU_DEP_1) | instskip(NEXT) | instid1(VALU_DEP_1)
	v_max_f64 v[2:3], v[2:3], v[6:7]
	v_cmp_nlt_f64_e32 vcc_lo, 0, v[2:3]
	s_cbranch_vccz .LBB4_14
; %bb.12:
	v_dual_mov_b32 v2, 0x3ff00000 :: v_dual_mov_b32 v3, v1
	v_mov_b32_e32 v4, v1
	s_mov_b32 s3, 0
	s_and_b32 vcc_lo, exec_lo, s16
	ds_store_b128 v1, v[1:4]
	v_mov_b32_e32 v2, v1
	global_store_b128 v1, v[1:4], s[6:7]
                                        ; implicit-def: $vgpr3_vgpr4
	s_cbranch_vccz .LBB4_15
; %bb.13:
	v_mov_b32_e32 v1, 0
	s_mov_b32 s2, -1
	global_load_b64 v[1:2], v1, s[4:5]
	s_and_b32 vcc_lo, exec_lo, s3
	s_cbranch_vccnz .LBB4_16
	s_branch .LBB4_17
.LBB4_14:
	s_mov_b32 s3, -1
.LBB4_15:
	s_mov_b32 s2, 0
                                        ; implicit-def: $vgpr1_vgpr2
	s_and_b32 vcc_lo, exec_lo, s3
	s_cbranch_vccz .LBB4_17
.LBB4_16:
	s_load_b64 s[2:3], s[4:5], 0x0
	s_waitcnt vmcnt(0) lgkmcnt(0)
	v_fma_f64 v[1:2], s[2:3], s[2:3], v[6:7]
	s_delay_alu instid0(VALU_DEP_1) | instskip(NEXT) | instid1(VALU_DEP_1)
	v_add_f64 v[1:2], v[8:9], v[1:2]
	v_cmp_gt_f64_e32 vcc_lo, 0x10000000, v[1:2]
	v_cndmask_b32_e64 v3, 0, 1, vcc_lo
	s_and_b32 s1, vcc_lo, exec_lo
	s_cselect_b32 s1, 0xffffff80, 0
	s_delay_alu instid0(VALU_DEP_1) | instskip(NEXT) | instid1(VALU_DEP_1)
	v_lshlrev_b32_e32 v3, 8, v3
	v_ldexp_f64 v[1:2], v[1:2], v3
	s_delay_alu instid0(VALU_DEP_1) | instskip(SKIP_4) | instid1(VALU_DEP_1)
	v_rsq_f64_e32 v[3:4], v[1:2]
	v_cmp_class_f64_e64 vcc_lo, v[1:2], 0x260
	s_waitcnt_depctr 0xfff
	v_mul_f64 v[8:9], v[1:2], v[3:4]
	v_mul_f64 v[3:4], v[3:4], 0.5
	v_fma_f64 v[10:11], -v[3:4], v[8:9], 0.5
	s_delay_alu instid0(VALU_DEP_1) | instskip(SKIP_1) | instid1(VALU_DEP_2)
	v_fma_f64 v[8:9], v[8:9], v[10:11], v[8:9]
	v_fma_f64 v[3:4], v[3:4], v[10:11], v[3:4]
	v_fma_f64 v[10:11], -v[8:9], v[8:9], v[1:2]
	s_delay_alu instid0(VALU_DEP_1) | instskip(NEXT) | instid1(VALU_DEP_1)
	v_fma_f64 v[8:9], v[10:11], v[3:4], v[8:9]
	v_fma_f64 v[10:11], -v[8:9], v[8:9], v[1:2]
	s_delay_alu instid0(VALU_DEP_1) | instskip(NEXT) | instid1(VALU_DEP_1)
	v_fma_f64 v[3:4], v[10:11], v[3:4], v[8:9]
	v_ldexp_f64 v[3:4], v[3:4], s1
	s_delay_alu instid0(VALU_DEP_1) | instskip(SKIP_1) | instid1(VALU_DEP_2)
	v_dual_cndmask_b32 v2, v4, v2 :: v_dual_cndmask_b32 v1, v3, v1
	v_cmp_ge_f64_e64 vcc_lo, s[2:3], 0
	v_xor_b32_e32 v3, 0x80000000, v2
	s_delay_alu instid0(VALU_DEP_1) | instskip(NEXT) | instid1(VALU_DEP_1)
	v_cndmask_b32_e32 v2, v2, v3, vcc_lo
	v_add_f64 v[3:4], s[2:3], -v[1:2]
	v_add_f64 v[10:11], v[1:2], -s[2:3]
	v_div_scale_f64 v[16:17], null, v[1:2], v[1:2], -s[10:11]
	s_delay_alu instid0(VALU_DEP_3) | instskip(NEXT) | instid1(VALU_DEP_3)
	v_fma_f64 v[8:9], v[3:4], v[3:4], v[6:7]
	v_div_scale_f64 v[14:15], null, v[1:2], v[1:2], v[10:11]
	s_delay_alu instid0(VALU_DEP_3) | instskip(NEXT) | instid1(VALU_DEP_2)
	v_rcp_f64_e32 v[24:25], v[16:17]
	v_div_scale_f64 v[6:7], null, v[8:9], v[8:9], v[3:4]
	v_div_scale_f64 v[12:13], null, v[8:9], v[8:9], -s[10:11]
	s_delay_alu instid0(VALU_DEP_3)
	v_rcp_f64_e32 v[22:23], v[14:15]
	s_waitcnt_depctr 0xfff
	v_fma_f64 v[32:33], -v[16:17], v[24:25], 1.0
	v_div_scale_f64 v[34:35], vcc_lo, v[3:4], v[8:9], v[3:4]
	v_rcp_f64_e32 v[18:19], v[6:7]
	v_rcp_f64_e32 v[20:21], v[12:13]
	s_delay_alu instid0(VALU_DEP_2)
	v_fma_f64 v[24:25], v[24:25], v[32:33], v[24:25]
	v_fma_f64 v[30:31], -v[14:15], v[22:23], 1.0
	s_waitcnt_depctr 0xfff
	v_fma_f64 v[26:27], -v[6:7], v[18:19], 1.0
	v_fma_f64 v[28:29], -v[12:13], v[20:21], 1.0
	;; [unrolled: 1-line block ×3, first 2 shown]
	v_fma_f64 v[22:23], v[22:23], v[30:31], v[22:23]
	s_delay_alu instid0(VALU_DEP_4) | instskip(NEXT) | instid1(VALU_DEP_4)
	v_fma_f64 v[18:19], v[18:19], v[26:27], v[18:19]
	v_fma_f64 v[20:21], v[20:21], v[28:29], v[20:21]
	s_delay_alu instid0(VALU_DEP_4) | instskip(NEXT) | instid1(VALU_DEP_4)
	v_fma_f64 v[24:25], v[24:25], v[32:33], v[24:25]
	v_fma_f64 v[30:31], -v[14:15], v[22:23], 1.0
	s_delay_alu instid0(VALU_DEP_4) | instskip(NEXT) | instid1(VALU_DEP_4)
	v_fma_f64 v[26:27], -v[6:7], v[18:19], 1.0
	v_fma_f64 v[28:29], -v[12:13], v[20:21], 1.0
	s_delay_alu instid0(VALU_DEP_3) | instskip(SKIP_1) | instid1(VALU_DEP_4)
	v_fma_f64 v[22:23], v[22:23], v[30:31], v[22:23]
	v_div_scale_f64 v[30:31], s3, -s[10:11], v[1:2], -s[10:11]
	v_fma_f64 v[18:19], v[18:19], v[26:27], v[18:19]
	v_div_scale_f64 v[26:27], s1, -s[10:11], v[8:9], -s[10:11]
	v_fma_f64 v[20:21], v[20:21], v[28:29], v[20:21]
	v_div_scale_f64 v[28:29], s2, v[10:11], v[1:2], v[10:11]
	v_mul_f64 v[40:41], v[30:31], v[24:25]
	v_mul_f64 v[32:33], v[34:35], v[18:19]
	s_delay_alu instid0(VALU_DEP_4) | instskip(NEXT) | instid1(VALU_DEP_4)
	v_mul_f64 v[36:37], v[26:27], v[20:21]
	v_mul_f64 v[38:39], v[28:29], v[22:23]
	s_delay_alu instid0(VALU_DEP_4) | instskip(NEXT) | instid1(VALU_DEP_4)
	v_fma_f64 v[16:17], -v[16:17], v[40:41], v[30:31]
	v_fma_f64 v[6:7], -v[6:7], v[32:33], v[34:35]
	s_delay_alu instid0(VALU_DEP_4) | instskip(NEXT) | instid1(VALU_DEP_4)
	v_fma_f64 v[12:13], -v[12:13], v[36:37], v[26:27]
	v_fma_f64 v[14:15], -v[14:15], v[38:39], v[28:29]
	s_delay_alu instid0(VALU_DEP_3) | instskip(SKIP_2) | instid1(VALU_DEP_3)
	v_div_fmas_f64 v[6:7], v[6:7], v[18:19], v[32:33]
	s_mov_b32 vcc_lo, s1
	s_mov_b32 s1, s15
	v_div_fmas_f64 v[12:13], v[12:13], v[20:21], v[36:37]
	s_mov_b32 vcc_lo, s2
	s_mov_b32 s2, s16
	s_delay_alu instid0(VALU_DEP_3) | instskip(SKIP_2) | instid1(VALU_DEP_4)
	v_div_fmas_f64 v[14:15], v[14:15], v[22:23], v[38:39]
	s_mov_b32 vcc_lo, s3
	v_div_fmas_f64 v[16:17], v[16:17], v[24:25], v[40:41]
	v_div_fixup_f64 v[6:7], v[6:7], v[8:9], v[3:4]
	v_mov_b32_e32 v3, 0
	v_div_fixup_f64 v[8:9], v[12:13], v[8:9], -s[10:11]
	v_div_fixup_f64 v[10:11], v[14:15], v[1:2], v[10:11]
	v_div_fixup_f64 v[12:13], v[16:17], v[1:2], -s[10:11]
	ds_store_b128 v3, v[6:9]
	global_store_b128 v3, v[10:13], s[6:7]
.LBB4_17:
	s_and_not1_b32 vcc_lo, exec_lo, s2
	s_cbranch_vccz .LBB4_24
; %bb.18:
	s_and_not1_b32 vcc_lo, exec_lo, s1
	s_cbranch_vccnz .LBB4_20
.LBB4_19:
	v_mov_b32_e32 v3, 0
	s_delay_alu instid0(VALU_DEP_1)
	v_mov_b32_e32 v4, v3
	s_waitcnt vmcnt(0) lgkmcnt(0)
	global_store_b128 v3, v[1:4], s[4:5]
.LBB4_20:
	s_or_b32 exec_lo, exec_lo, s23
	s_waitcnt vmcnt(0) lgkmcnt(0)
	s_waitcnt_vscnt null, 0x0
	s_barrier
	buffer_gl0_inv
	s_and_saveexec_b32 s1, s0
	s_cbranch_execz .LBB4_23
; %bb.21:
	v_mov_b32_e32 v1, 0
	s_lshl_b32 s0, s22, 10
	s_mov_b32 s1, 0
	ds_load_b128 v[1:4], v1
	.p2align	6
.LBB4_22:                               ; =>This Inner Loop Header: Depth=1
	v_ashrrev_i32_e32 v6, 31, v5
	v_add_nc_u32_e32 v0, 0x400, v0
	s_delay_alu instid0(VALU_DEP_2) | instskip(SKIP_1) | instid1(VALU_DEP_2)
	v_lshlrev_b64 v[6:7], 4, v[5:6]
	v_add_nc_u32_e32 v5, s0, v5
	v_add_co_u32 v12, vcc_lo, s12, v6
	s_delay_alu instid0(VALU_DEP_3)
	v_add_co_ci_u32_e32 v13, vcc_lo, s13, v7, vcc_lo
	v_cmp_le_i32_e32 vcc_lo, s14, v0
	global_load_b128 v[6:9], v[12:13], off
	s_or_b32 s1, vcc_lo, s1
	s_waitcnt vmcnt(0) lgkmcnt(0)
	v_mul_f64 v[10:11], v[3:4], v[8:9]
	v_mul_f64 v[14:15], v[1:2], v[8:9]
	s_delay_alu instid0(VALU_DEP_2) | instskip(NEXT) | instid1(VALU_DEP_2)
	v_fma_f64 v[8:9], v[1:2], v[6:7], -v[10:11]
	v_fma_f64 v[10:11], v[3:4], v[6:7], v[14:15]
	global_store_b128 v[12:13], v[8:11], off
	s_and_not1_b32 exec_lo, exec_lo, s1
	s_cbranch_execnz .LBB4_22
.LBB4_23:
	s_nop 0
	s_sendmsg sendmsg(MSG_DEALLOC_VGPRS)
	s_endpgm
.LBB4_24:
	v_dual_mov_b32 v3, s8 :: v_dual_mov_b32 v4, s9
	s_waitcnt vmcnt(0)
	flat_store_b64 v[3:4], v[1:2]
	v_mov_b32_e32 v1, 0
	v_mov_b32_e32 v2, 0x3ff00000
	s_branch .LBB4_19
	.section	.rodata,"a",@progbits
	.p2align	6, 0x0
	.amdhsa_kernel _ZN9rocsolver6v33100L18larfg_kernel_smallILi1024E19rocblas_complex_numIdEidPS3_EEvT1_T3_llPT2_llS6_lS5_lPT0_l
		.amdhsa_group_segment_fixed_size 512
		.amdhsa_private_segment_fixed_size 0
		.amdhsa_kernarg_size 104
		.amdhsa_user_sgpr_count 14
		.amdhsa_user_sgpr_dispatch_ptr 0
		.amdhsa_user_sgpr_queue_ptr 0
		.amdhsa_user_sgpr_kernarg_segment_ptr 1
		.amdhsa_user_sgpr_dispatch_id 0
		.amdhsa_user_sgpr_private_segment_size 0
		.amdhsa_wavefront_size32 1
		.amdhsa_uses_dynamic_stack 0
		.amdhsa_enable_private_segment 0
		.amdhsa_system_sgpr_workgroup_id_x 1
		.amdhsa_system_sgpr_workgroup_id_y 0
		.amdhsa_system_sgpr_workgroup_id_z 1
		.amdhsa_system_sgpr_workgroup_info 0
		.amdhsa_system_vgpr_workitem_id 0
		.amdhsa_next_free_vgpr 42
		.amdhsa_next_free_sgpr 34
		.amdhsa_reserve_vcc 1
		.amdhsa_float_round_mode_32 0
		.amdhsa_float_round_mode_16_64 0
		.amdhsa_float_denorm_mode_32 3
		.amdhsa_float_denorm_mode_16_64 3
		.amdhsa_dx10_clamp 1
		.amdhsa_ieee_mode 1
		.amdhsa_fp16_overflow 0
		.amdhsa_workgroup_processor_mode 1
		.amdhsa_memory_ordered 1
		.amdhsa_forward_progress 0
		.amdhsa_shared_vgpr_count 0
		.amdhsa_exception_fp_ieee_invalid_op 0
		.amdhsa_exception_fp_denorm_src 0
		.amdhsa_exception_fp_ieee_div_zero 0
		.amdhsa_exception_fp_ieee_overflow 0
		.amdhsa_exception_fp_ieee_underflow 0
		.amdhsa_exception_fp_ieee_inexact 0
		.amdhsa_exception_int_div_zero 0
	.end_amdhsa_kernel
	.section	.text._ZN9rocsolver6v33100L18larfg_kernel_smallILi1024E19rocblas_complex_numIdEidPS3_EEvT1_T3_llPT2_llS6_lS5_lPT0_l,"axG",@progbits,_ZN9rocsolver6v33100L18larfg_kernel_smallILi1024E19rocblas_complex_numIdEidPS3_EEvT1_T3_llPT2_llS6_lS5_lPT0_l,comdat
.Lfunc_end4:
	.size	_ZN9rocsolver6v33100L18larfg_kernel_smallILi1024E19rocblas_complex_numIdEidPS3_EEvT1_T3_llPT2_llS6_lS5_lPT0_l, .Lfunc_end4-_ZN9rocsolver6v33100L18larfg_kernel_smallILi1024E19rocblas_complex_numIdEidPS3_EEvT1_T3_llPT2_llS6_lS5_lPT0_l
                                        ; -- End function
	.section	.AMDGPU.csdata,"",@progbits
; Kernel info:
; codeLenInByte = 3068
; NumSgprs: 36
; NumVgprs: 42
; ScratchSize: 0
; MemoryBound: 0
; FloatMode: 240
; IeeeMode: 1
; LDSByteSize: 512 bytes/workgroup (compile time only)
; SGPRBlocks: 4
; VGPRBlocks: 5
; NumSGPRsForWavesPerEU: 36
; NumVGPRsForWavesPerEU: 42
; Occupancy: 16
; WaveLimiterHint : 1
; COMPUTE_PGM_RSRC2:SCRATCH_EN: 0
; COMPUTE_PGM_RSRC2:USER_SGPR: 14
; COMPUTE_PGM_RSRC2:TRAP_HANDLER: 0
; COMPUTE_PGM_RSRC2:TGID_X_EN: 1
; COMPUTE_PGM_RSRC2:TGID_Y_EN: 0
; COMPUTE_PGM_RSRC2:TGID_Z_EN: 1
; COMPUTE_PGM_RSRC2:TIDIG_COMP_CNT: 0
	.section	.text._ZN9rocsolver6v33100L18larfg_kernel_smallILi64E19rocblas_complex_numIdEidPKPS3_EEvT1_T3_llPT2_llS8_lS7_lPT0_l,"axG",@progbits,_ZN9rocsolver6v33100L18larfg_kernel_smallILi64E19rocblas_complex_numIdEidPKPS3_EEvT1_T3_llPT2_llS8_lS7_lPT0_l,comdat
	.globl	_ZN9rocsolver6v33100L18larfg_kernel_smallILi64E19rocblas_complex_numIdEidPKPS3_EEvT1_T3_llPT2_llS8_lS7_lPT0_l ; -- Begin function _ZN9rocsolver6v33100L18larfg_kernel_smallILi64E19rocblas_complex_numIdEidPKPS3_EEvT1_T3_llPT2_llS8_lS7_lPT0_l
	.p2align	8
	.type	_ZN9rocsolver6v33100L18larfg_kernel_smallILi64E19rocblas_complex_numIdEidPKPS3_EEvT1_T3_llPT2_llS8_lS7_lPT0_l,@function
_ZN9rocsolver6v33100L18larfg_kernel_smallILi64E19rocblas_complex_numIdEidPKPS3_EEvT1_T3_llPT2_llS8_lS7_lPT0_l: ; @_ZN9rocsolver6v33100L18larfg_kernel_smallILi64E19rocblas_complex_numIdEidPKPS3_EEvT1_T3_llPT2_llS8_lS7_lPT0_l
; %bb.0:
	s_mov_b32 s16, s15
	s_clause 0x1
	s_load_b128 s[12:15], s[0:1], 0x8
	s_load_b256 s[4:11], s[0:1], 0x20
	s_ashr_i32 s17, s16, 31
	s_delay_alu instid0(SALU_CYCLE_1)
	s_lshl_b64 s[18:19], s[16:17], 3
	s_waitcnt lgkmcnt(0)
	s_add_u32 s2, s12, s18
	s_addc_u32 s3, s13, s19
	s_add_u32 s10, s10, s18
	s_addc_u32 s11, s11, s19
	s_load_b64 s[18:19], s[0:1], 0x40
	s_load_b64 s[12:13], s[10:11], 0x0
	s_cmp_eq_u64 s[4:5], 0
	s_mov_b64 s[10:11], 0
	s_cbranch_scc1 .LBB5_2
; %bb.1:
	s_mul_i32 s9, s16, s9
	s_mul_hi_u32 s10, s16, s8
	s_delay_alu instid0(SALU_CYCLE_1) | instskip(SKIP_3) | instid1(SALU_CYCLE_1)
	s_add_i32 s9, s10, s9
	s_mul_i32 s10, s17, s8
	s_mul_i32 s8, s16, s8
	s_add_i32 s9, s9, s10
	s_lshl_b64 s[8:9], s[8:9], 3
	s_delay_alu instid0(SALU_CYCLE_1) | instskip(SKIP_2) | instid1(SALU_CYCLE_1)
	s_add_u32 s8, s4, s8
	s_addc_u32 s9, s5, s9
	s_lshl_b64 s[4:5], s[6:7], 3
	s_add_u32 s10, s8, s4
	s_addc_u32 s11, s9, s5
.LBB5_2:
	s_clause 0x1
	s_load_b32 s6, s[0:1], 0x0
	s_load_b32 s20, s[0:1], 0x48
	s_load_b64 s[4:5], s[2:3], 0x0
	v_mov_b32_e32 v1, 0
	s_waitcnt lgkmcnt(0)
	s_lshl_b64 s[2:3], s[18:19], 4
	v_mov_b32_e32 v2, 0
	s_add_u32 s12, s12, s2
	s_addc_u32 s13, s13, s3
	s_delay_alu instid0(VALU_DEP_1) | instskip(SKIP_3) | instid1(VALU_DEP_1)
	v_dual_mov_b32 v4, v2 :: v_dual_mov_b32 v3, v1
	s_add_i32 s18, s6, -1
	v_mul_lo_u32 v5, v0, s20
	v_cmp_gt_i32_e64 s2, s18, v0
	s_and_saveexec_b32 s3, s2
	s_cbranch_execz .LBB5_6
; %bb.3:
	v_dual_mov_b32 v1, 0 :: v_dual_mov_b32 v8, v0
	v_mov_b32_e32 v2, 0
	v_mul_lo_u32 v6, v0, s20
	s_lshl_b32 s7, s20, 6
	s_mov_b32 s6, 0
	s_delay_alu instid0(VALU_DEP_2)
	v_dual_mov_b32 v4, v2 :: v_dual_mov_b32 v3, v1
	.p2align	6
.LBB5_4:                                ; =>This Inner Loop Header: Depth=1
	s_delay_alu instid0(VALU_DEP_2) | instskip(SKIP_1) | instid1(VALU_DEP_2)
	v_ashrrev_i32_e32 v7, 31, v6
	v_add_nc_u32_e32 v8, 64, v8
	v_lshlrev_b64 v[9:10], 4, v[6:7]
	v_add_nc_u32_e32 v6, s7, v6
	s_delay_alu instid0(VALU_DEP_2) | instskip(NEXT) | instid1(VALU_DEP_3)
	v_add_co_u32 v9, vcc_lo, s12, v9
	v_add_co_ci_u32_e32 v10, vcc_lo, s13, v10, vcc_lo
	v_cmp_le_i32_e32 vcc_lo, s18, v8
	global_load_b128 v[9:12], v[9:10], off
	s_or_b32 s6, vcc_lo, s6
	s_waitcnt vmcnt(0)
	v_mul_f64 v[13:14], v[11:12], v[11:12]
	v_mul_f64 v[15:16], v[9:10], v[11:12]
	s_delay_alu instid0(VALU_DEP_2) | instskip(NEXT) | instid1(VALU_DEP_2)
	v_fma_f64 v[13:14], v[9:10], v[9:10], v[13:14]
	v_fma_f64 v[9:10], v[9:10], v[11:12], -v[15:16]
	s_delay_alu instid0(VALU_DEP_2) | instskip(NEXT) | instid1(VALU_DEP_2)
	v_add_f64 v[3:4], v[3:4], v[13:14]
	v_add_f64 v[1:2], v[1:2], v[9:10]
	s_and_not1_b32 exec_lo, exec_lo, s6
	s_cbranch_execnz .LBB5_4
; %bb.5:
	s_or_b32 exec_lo, exec_lo, s6
.LBB5_6:
	s_delay_alu instid0(SALU_CYCLE_1) | instskip(SKIP_2) | instid1(VALU_DEP_1)
	s_or_b32 exec_lo, exec_lo, s3
	v_mbcnt_lo_u32_b32 v10, -1, 0
	s_mov_b32 s3, exec_lo
	v_cmp_ne_u32_e32 vcc_lo, 31, v10
	v_add_co_ci_u32_e32 v6, vcc_lo, 0, v10, vcc_lo
	v_cmp_gt_u32_e32 vcc_lo, 30, v10
	s_delay_alu instid0(VALU_DEP_2)
	v_lshlrev_b32_e32 v9, 2, v6
	ds_bpermute_b32 v6, v9, v3
	ds_bpermute_b32 v7, v9, v4
	ds_bpermute_b32 v8, v9, v1
	ds_bpermute_b32 v9, v9, v2
	s_waitcnt lgkmcnt(2)
	v_add_f64 v[3:4], v[3:4], v[6:7]
	v_cndmask_b32_e64 v6, 0, 1, vcc_lo
	s_waitcnt lgkmcnt(0)
	v_add_f64 v[1:2], v[1:2], v[8:9]
	v_cmp_gt_u32_e32 vcc_lo, 28, v10
	s_delay_alu instid0(VALU_DEP_3) | instskip(NEXT) | instid1(VALU_DEP_1)
	v_lshlrev_b32_e32 v6, 1, v6
	v_add_lshl_u32 v9, v6, v10, 2
	ds_bpermute_b32 v6, v9, v3
	ds_bpermute_b32 v7, v9, v4
	ds_bpermute_b32 v8, v9, v1
	ds_bpermute_b32 v9, v9, v2
	s_waitcnt lgkmcnt(2)
	v_add_f64 v[3:4], v[3:4], v[6:7]
	v_cndmask_b32_e64 v6, 0, 1, vcc_lo
	s_waitcnt lgkmcnt(0)
	v_add_f64 v[1:2], v[1:2], v[8:9]
	v_cmp_gt_u32_e32 vcc_lo, 24, v10
	s_delay_alu instid0(VALU_DEP_3) | instskip(NEXT) | instid1(VALU_DEP_1)
	v_lshlrev_b32_e32 v6, 2, v6
	v_add_lshl_u32 v9, v6, v10, 2
	;; [unrolled: 13-line block ×3, first 2 shown]
	ds_bpermute_b32 v6, v9, v3
	ds_bpermute_b32 v7, v9, v4
	;; [unrolled: 1-line block ×4, first 2 shown]
	s_waitcnt lgkmcnt(2)
	v_add_f64 v[3:4], v[3:4], v[6:7]
	s_waitcnt lgkmcnt(0)
	v_add_f64 v[6:7], v[1:2], v[8:9]
	v_cndmask_b32_e64 v1, 0, 1, vcc_lo
	s_delay_alu instid0(VALU_DEP_1) | instskip(NEXT) | instid1(VALU_DEP_1)
	v_lshlrev_b32_e32 v1, 4, v1
	v_add_lshl_u32 v9, v1, v10, 2
	ds_bpermute_b32 v1, v9, v3
	ds_bpermute_b32 v2, v9, v4
	;; [unrolled: 1-line block ×4, first 2 shown]
	s_waitcnt lgkmcnt(2)
	v_add_f64 v[1:2], v[3:4], v[1:2]
	s_waitcnt lgkmcnt(0)
	v_add_f64 v[3:4], v[6:7], v[8:9]
	v_and_b32_e32 v6, 31, v0
	s_delay_alu instid0(VALU_DEP_1)
	v_cmpx_eq_u32_e32 0, v6
	s_cbranch_execz .LBB5_8
; %bb.7:
	v_lshrrev_b32_e32 v6, 1, v0
	ds_store_b128 v6, v[1:4]
.LBB5_8:
	s_or_b32 exec_lo, exec_lo, s3
	v_cmp_eq_u32_e32 vcc_lo, 0, v0
	s_waitcnt lgkmcnt(0)
	s_barrier
	buffer_gl0_inv
	s_and_saveexec_b32 s3, vcc_lo
	s_cbranch_execz .LBB5_10
; %bb.9:
	v_mov_b32_e32 v10, 0
	ds_load_b128 v[6:9], v10 offset:16
	s_waitcnt lgkmcnt(0)
	v_add_f64 v[1:2], v[1:2], v[6:7]
	v_add_f64 v[3:4], v[3:4], v[8:9]
	ds_store_b128 v10, v[1:4]
.LBB5_10:
	s_or_b32 exec_lo, exec_lo, s3
	s_waitcnt lgkmcnt(0)
	s_barrier
	buffer_gl0_inv
	s_and_saveexec_b32 s19, vcc_lo
	s_cbranch_execz .LBB5_20
; %bb.11:
	s_lshl_b64 s[6:7], s[14:15], 4
	v_mov_b32_e32 v1, 0
	s_add_u32 s4, s4, s6
	s_addc_u32 s5, s5, s7
	s_load_b128 s[24:27], s[0:1], 0x58
	s_load_b64 s[8:9], s[4:5], 0x8
	ds_load_b64 v[8:9], v1
	s_waitcnt lgkmcnt(0)
	s_mul_i32 s0, s16, s27
	v_mul_f64 v[6:7], s[8:9], s[8:9]
	v_max_f64 v[2:3], v[8:9], v[8:9]
	s_mul_hi_u32 s1, s16, s26
	s_delay_alu instid0(SALU_CYCLE_1) | instskip(SKIP_1) | instid1(SALU_CYCLE_1)
	s_add_i32 s0, s1, s0
	s_mul_i32 s1, s17, s26
	s_add_i32 s1, s0, s1
	s_mul_i32 s0, s16, s26
	s_delay_alu instid0(SALU_CYCLE_1) | instskip(NEXT) | instid1(SALU_CYCLE_1)
	s_lshl_b64 s[0:1], s[0:1], 4
	s_add_u32 s6, s24, s0
	s_addc_u32 s7, s25, s1
	s_cmp_eq_u64 s[10:11], 0
	s_mov_b32 s0, 0
	s_cselect_b32 s14, -1, 0
	s_cmp_lg_u64 s[10:11], 0
	s_cselect_b32 s15, -1, 0
	s_delay_alu instid0(VALU_DEP_1) | instskip(NEXT) | instid1(VALU_DEP_1)
	v_max_f64 v[2:3], v[2:3], v[6:7]
	v_cmp_nlt_f64_e32 vcc_lo, 0, v[2:3]
	s_cbranch_vccz .LBB5_14
; %bb.12:
	v_dual_mov_b32 v2, 0x3ff00000 :: v_dual_mov_b32 v3, v1
	v_mov_b32_e32 v4, v1
	s_mov_b32 s3, 0
	s_and_b32 vcc_lo, exec_lo, s15
	ds_store_b128 v1, v[1:4]
	v_mov_b32_e32 v2, v1
	global_store_b128 v1, v[1:4], s[6:7]
                                        ; implicit-def: $vgpr3_vgpr4
	s_cbranch_vccz .LBB5_15
; %bb.13:
	v_mov_b32_e32 v1, 0
	s_mov_b32 s1, -1
	global_load_b64 v[1:2], v1, s[4:5]
	s_and_b32 vcc_lo, exec_lo, s3
	s_cbranch_vccnz .LBB5_16
	s_branch .LBB5_17
.LBB5_14:
	s_mov_b32 s3, -1
.LBB5_15:
	s_mov_b32 s1, 0
                                        ; implicit-def: $vgpr1_vgpr2
	s_and_b32 vcc_lo, exec_lo, s3
	s_cbranch_vccz .LBB5_17
.LBB5_16:
	v_mov_b32_e32 v42, 0
	global_load_b64 v[3:4], v42, s[4:5]
	s_waitcnt vmcnt(0)
	v_fma_f64 v[1:2], v[3:4], v[3:4], v[6:7]
	s_delay_alu instid0(VALU_DEP_1) | instskip(NEXT) | instid1(VALU_DEP_1)
	v_add_f64 v[1:2], v[8:9], v[1:2]
	v_cmp_gt_f64_e32 vcc_lo, 0x10000000, v[1:2]
	v_cndmask_b32_e64 v8, 0, 1, vcc_lo
	s_and_b32 s0, vcc_lo, exec_lo
	s_cselect_b32 s0, 0xffffff80, 0
	s_delay_alu instid0(VALU_DEP_1) | instskip(NEXT) | instid1(VALU_DEP_1)
	v_lshlrev_b32_e32 v8, 8, v8
	v_ldexp_f64 v[1:2], v[1:2], v8
	s_delay_alu instid0(VALU_DEP_1) | instskip(SKIP_4) | instid1(VALU_DEP_1)
	v_rsq_f64_e32 v[8:9], v[1:2]
	v_cmp_class_f64_e64 vcc_lo, v[1:2], 0x260
	s_waitcnt_depctr 0xfff
	v_mul_f64 v[10:11], v[1:2], v[8:9]
	v_mul_f64 v[8:9], v[8:9], 0.5
	v_fma_f64 v[12:13], -v[8:9], v[10:11], 0.5
	s_delay_alu instid0(VALU_DEP_1) | instskip(SKIP_1) | instid1(VALU_DEP_2)
	v_fma_f64 v[10:11], v[10:11], v[12:13], v[10:11]
	v_fma_f64 v[8:9], v[8:9], v[12:13], v[8:9]
	v_fma_f64 v[12:13], -v[10:11], v[10:11], v[1:2]
	s_delay_alu instid0(VALU_DEP_1) | instskip(NEXT) | instid1(VALU_DEP_1)
	v_fma_f64 v[10:11], v[12:13], v[8:9], v[10:11]
	v_fma_f64 v[12:13], -v[10:11], v[10:11], v[1:2]
	s_delay_alu instid0(VALU_DEP_1) | instskip(NEXT) | instid1(VALU_DEP_1)
	v_fma_f64 v[8:9], v[12:13], v[8:9], v[10:11]
	v_ldexp_f64 v[8:9], v[8:9], s0
	s_delay_alu instid0(VALU_DEP_1) | instskip(SKIP_1) | instid1(VALU_DEP_2)
	v_dual_cndmask_b32 v1, v8, v1 :: v_dual_cndmask_b32 v2, v9, v2
	v_cmp_le_f64_e32 vcc_lo, 0, v[3:4]
	v_xor_b32_e32 v8, 0x80000000, v2
	s_delay_alu instid0(VALU_DEP_1) | instskip(NEXT) | instid1(VALU_DEP_1)
	v_cndmask_b32_e32 v2, v2, v8, vcc_lo
	v_add_f64 v[8:9], v[3:4], -v[1:2]
	v_add_f64 v[3:4], v[1:2], -v[3:4]
	v_div_scale_f64 v[16:17], null, v[1:2], v[1:2], -s[8:9]
	s_delay_alu instid0(VALU_DEP_3) | instskip(NEXT) | instid1(VALU_DEP_3)
	v_fma_f64 v[10:11], v[8:9], v[8:9], v[6:7]
	v_div_scale_f64 v[14:15], null, v[1:2], v[1:2], v[3:4]
	s_delay_alu instid0(VALU_DEP_3) | instskip(NEXT) | instid1(VALU_DEP_2)
	v_rcp_f64_e32 v[24:25], v[16:17]
	v_div_scale_f64 v[6:7], null, v[10:11], v[10:11], v[8:9]
	v_div_scale_f64 v[12:13], null, v[10:11], v[10:11], -s[8:9]
	s_delay_alu instid0(VALU_DEP_3)
	v_rcp_f64_e32 v[22:23], v[14:15]
	s_waitcnt_depctr 0xfff
	v_fma_f64 v[32:33], -v[16:17], v[24:25], 1.0
	v_div_scale_f64 v[34:35], vcc_lo, v[8:9], v[10:11], v[8:9]
	v_rcp_f64_e32 v[18:19], v[6:7]
	v_rcp_f64_e32 v[20:21], v[12:13]
	s_delay_alu instid0(VALU_DEP_2)
	v_fma_f64 v[24:25], v[24:25], v[32:33], v[24:25]
	v_fma_f64 v[30:31], -v[14:15], v[22:23], 1.0
	s_waitcnt_depctr 0xfff
	v_fma_f64 v[26:27], -v[6:7], v[18:19], 1.0
	v_fma_f64 v[28:29], -v[12:13], v[20:21], 1.0
	v_fma_f64 v[32:33], -v[16:17], v[24:25], 1.0
	v_fma_f64 v[22:23], v[22:23], v[30:31], v[22:23]
	s_delay_alu instid0(VALU_DEP_4) | instskip(NEXT) | instid1(VALU_DEP_4)
	v_fma_f64 v[18:19], v[18:19], v[26:27], v[18:19]
	v_fma_f64 v[20:21], v[20:21], v[28:29], v[20:21]
	s_delay_alu instid0(VALU_DEP_4) | instskip(NEXT) | instid1(VALU_DEP_4)
	v_fma_f64 v[24:25], v[24:25], v[32:33], v[24:25]
	v_fma_f64 v[30:31], -v[14:15], v[22:23], 1.0
	s_delay_alu instid0(VALU_DEP_4) | instskip(NEXT) | instid1(VALU_DEP_4)
	v_fma_f64 v[26:27], -v[6:7], v[18:19], 1.0
	v_fma_f64 v[28:29], -v[12:13], v[20:21], 1.0
	s_delay_alu instid0(VALU_DEP_3) | instskip(SKIP_1) | instid1(VALU_DEP_4)
	v_fma_f64 v[22:23], v[22:23], v[30:31], v[22:23]
	v_div_scale_f64 v[30:31], s3, -s[8:9], v[1:2], -s[8:9]
	v_fma_f64 v[18:19], v[18:19], v[26:27], v[18:19]
	v_div_scale_f64 v[26:27], s0, -s[8:9], v[10:11], -s[8:9]
	v_fma_f64 v[20:21], v[20:21], v[28:29], v[20:21]
	v_div_scale_f64 v[28:29], s1, v[3:4], v[1:2], v[3:4]
	v_mul_f64 v[40:41], v[30:31], v[24:25]
	v_mul_f64 v[32:33], v[34:35], v[18:19]
	s_delay_alu instid0(VALU_DEP_4) | instskip(NEXT) | instid1(VALU_DEP_4)
	v_mul_f64 v[36:37], v[26:27], v[20:21]
	v_mul_f64 v[38:39], v[28:29], v[22:23]
	s_delay_alu instid0(VALU_DEP_4) | instskip(NEXT) | instid1(VALU_DEP_4)
	v_fma_f64 v[16:17], -v[16:17], v[40:41], v[30:31]
	v_fma_f64 v[6:7], -v[6:7], v[32:33], v[34:35]
	s_delay_alu instid0(VALU_DEP_4) | instskip(NEXT) | instid1(VALU_DEP_4)
	v_fma_f64 v[12:13], -v[12:13], v[36:37], v[26:27]
	v_fma_f64 v[14:15], -v[14:15], v[38:39], v[28:29]
	s_delay_alu instid0(VALU_DEP_3) | instskip(SKIP_2) | instid1(VALU_DEP_3)
	v_div_fmas_f64 v[6:7], v[6:7], v[18:19], v[32:33]
	s_mov_b32 vcc_lo, s0
	s_mov_b32 s0, s14
	v_div_fmas_f64 v[12:13], v[12:13], v[20:21], v[36:37]
	s_mov_b32 vcc_lo, s1
	s_mov_b32 s1, s15
	s_delay_alu instid0(VALU_DEP_3) | instskip(SKIP_2) | instid1(VALU_DEP_4)
	v_div_fmas_f64 v[14:15], v[14:15], v[22:23], v[38:39]
	s_mov_b32 vcc_lo, s3
	v_div_fmas_f64 v[16:17], v[16:17], v[24:25], v[40:41]
	v_div_fixup_f64 v[6:7], v[6:7], v[10:11], v[8:9]
	s_delay_alu instid0(VALU_DEP_4) | instskip(NEXT) | instid1(VALU_DEP_4)
	v_div_fixup_f64 v[8:9], v[12:13], v[10:11], -s[8:9]
	v_div_fixup_f64 v[10:11], v[14:15], v[1:2], v[3:4]
	s_delay_alu instid0(VALU_DEP_4)
	v_div_fixup_f64 v[12:13], v[16:17], v[1:2], -s[8:9]
	ds_store_b128 v42, v[6:9]
	global_store_b128 v42, v[10:13], s[6:7]
.LBB5_17:
	s_and_not1_b32 vcc_lo, exec_lo, s1
	s_cbranch_vccz .LBB5_24
; %bb.18:
	s_and_not1_b32 vcc_lo, exec_lo, s0
	s_cbranch_vccnz .LBB5_20
.LBB5_19:
	v_mov_b32_e32 v3, 0
	s_delay_alu instid0(VALU_DEP_1)
	v_mov_b32_e32 v4, v3
	s_waitcnt vmcnt(0)
	global_store_b128 v3, v[1:4], s[4:5]
.LBB5_20:
	s_or_b32 exec_lo, exec_lo, s19
	s_waitcnt vmcnt(0) lgkmcnt(0)
	s_waitcnt_vscnt null, 0x0
	s_barrier
	buffer_gl0_inv
	s_and_saveexec_b32 s0, s2
	s_cbranch_execz .LBB5_23
; %bb.21:
	v_mov_b32_e32 v1, 0
	s_lshl_b32 s0, s20, 6
	s_mov_b32 s1, 0
	ds_load_b128 v[1:4], v1
	.p2align	6
.LBB5_22:                               ; =>This Inner Loop Header: Depth=1
	v_ashrrev_i32_e32 v6, 31, v5
	v_add_nc_u32_e32 v0, 64, v0
	s_delay_alu instid0(VALU_DEP_2) | instskip(SKIP_1) | instid1(VALU_DEP_2)
	v_lshlrev_b64 v[6:7], 4, v[5:6]
	v_add_nc_u32_e32 v5, s0, v5
	v_add_co_u32 v12, vcc_lo, s12, v6
	s_delay_alu instid0(VALU_DEP_3)
	v_add_co_ci_u32_e32 v13, vcc_lo, s13, v7, vcc_lo
	v_cmp_le_i32_e32 vcc_lo, s18, v0
	global_load_b128 v[6:9], v[12:13], off
	s_or_b32 s1, vcc_lo, s1
	s_waitcnt vmcnt(0) lgkmcnt(0)
	v_mul_f64 v[10:11], v[3:4], v[8:9]
	v_mul_f64 v[14:15], v[1:2], v[8:9]
	s_delay_alu instid0(VALU_DEP_2) | instskip(NEXT) | instid1(VALU_DEP_2)
	v_fma_f64 v[8:9], v[1:2], v[6:7], -v[10:11]
	v_fma_f64 v[10:11], v[3:4], v[6:7], v[14:15]
	global_store_b128 v[12:13], v[8:11], off
	s_and_not1_b32 exec_lo, exec_lo, s1
	s_cbranch_execnz .LBB5_22
.LBB5_23:
	s_nop 0
	s_sendmsg sendmsg(MSG_DEALLOC_VGPRS)
	s_endpgm
.LBB5_24:
	v_dual_mov_b32 v3, s10 :: v_dual_mov_b32 v4, s11
	s_waitcnt vmcnt(0)
	flat_store_b64 v[3:4], v[1:2]
	v_mov_b32_e32 v1, 0
	v_mov_b32_e32 v2, 0x3ff00000
	s_branch .LBB5_19
	.section	.rodata,"a",@progbits
	.p2align	6, 0x0
	.amdhsa_kernel _ZN9rocsolver6v33100L18larfg_kernel_smallILi64E19rocblas_complex_numIdEidPKPS3_EEvT1_T3_llPT2_llS8_lS7_lPT0_l
		.amdhsa_group_segment_fixed_size 32
		.amdhsa_private_segment_fixed_size 0
		.amdhsa_kernarg_size 104
		.amdhsa_user_sgpr_count 14
		.amdhsa_user_sgpr_dispatch_ptr 0
		.amdhsa_user_sgpr_queue_ptr 0
		.amdhsa_user_sgpr_kernarg_segment_ptr 1
		.amdhsa_user_sgpr_dispatch_id 0
		.amdhsa_user_sgpr_private_segment_size 0
		.amdhsa_wavefront_size32 1
		.amdhsa_uses_dynamic_stack 0
		.amdhsa_enable_private_segment 0
		.amdhsa_system_sgpr_workgroup_id_x 1
		.amdhsa_system_sgpr_workgroup_id_y 0
		.amdhsa_system_sgpr_workgroup_id_z 1
		.amdhsa_system_sgpr_workgroup_info 0
		.amdhsa_system_vgpr_workitem_id 0
		.amdhsa_next_free_vgpr 43
		.amdhsa_next_free_sgpr 28
		.amdhsa_reserve_vcc 1
		.amdhsa_float_round_mode_32 0
		.amdhsa_float_round_mode_16_64 0
		.amdhsa_float_denorm_mode_32 3
		.amdhsa_float_denorm_mode_16_64 3
		.amdhsa_dx10_clamp 1
		.amdhsa_ieee_mode 1
		.amdhsa_fp16_overflow 0
		.amdhsa_workgroup_processor_mode 1
		.amdhsa_memory_ordered 1
		.amdhsa_forward_progress 0
		.amdhsa_shared_vgpr_count 0
		.amdhsa_exception_fp_ieee_invalid_op 0
		.amdhsa_exception_fp_denorm_src 0
		.amdhsa_exception_fp_ieee_div_zero 0
		.amdhsa_exception_fp_ieee_overflow 0
		.amdhsa_exception_fp_ieee_underflow 0
		.amdhsa_exception_fp_ieee_inexact 0
		.amdhsa_exception_int_div_zero 0
	.end_amdhsa_kernel
	.section	.text._ZN9rocsolver6v33100L18larfg_kernel_smallILi64E19rocblas_complex_numIdEidPKPS3_EEvT1_T3_llPT2_llS8_lS7_lPT0_l,"axG",@progbits,_ZN9rocsolver6v33100L18larfg_kernel_smallILi64E19rocblas_complex_numIdEidPKPS3_EEvT1_T3_llPT2_llS8_lS7_lPT0_l,comdat
.Lfunc_end5:
	.size	_ZN9rocsolver6v33100L18larfg_kernel_smallILi64E19rocblas_complex_numIdEidPKPS3_EEvT1_T3_llPT2_llS8_lS7_lPT0_l, .Lfunc_end5-_ZN9rocsolver6v33100L18larfg_kernel_smallILi64E19rocblas_complex_numIdEidPKPS3_EEvT1_T3_llPT2_llS8_lS7_lPT0_l
                                        ; -- End function
	.section	.AMDGPU.csdata,"",@progbits
; Kernel info:
; codeLenInByte = 2136
; NumSgprs: 30
; NumVgprs: 43
; ScratchSize: 0
; MemoryBound: 0
; FloatMode: 240
; IeeeMode: 1
; LDSByteSize: 32 bytes/workgroup (compile time only)
; SGPRBlocks: 3
; VGPRBlocks: 5
; NumSGPRsForWavesPerEU: 30
; NumVGPRsForWavesPerEU: 43
; Occupancy: 16
; WaveLimiterHint : 1
; COMPUTE_PGM_RSRC2:SCRATCH_EN: 0
; COMPUTE_PGM_RSRC2:USER_SGPR: 14
; COMPUTE_PGM_RSRC2:TRAP_HANDLER: 0
; COMPUTE_PGM_RSRC2:TGID_X_EN: 1
; COMPUTE_PGM_RSRC2:TGID_Y_EN: 0
; COMPUTE_PGM_RSRC2:TGID_Z_EN: 1
; COMPUTE_PGM_RSRC2:TIDIG_COMP_CNT: 0
	.section	.text._ZN9rocsolver6v33100L18larfg_kernel_smallILi128E19rocblas_complex_numIdEidPKPS3_EEvT1_T3_llPT2_llS8_lS7_lPT0_l,"axG",@progbits,_ZN9rocsolver6v33100L18larfg_kernel_smallILi128E19rocblas_complex_numIdEidPKPS3_EEvT1_T3_llPT2_llS8_lS7_lPT0_l,comdat
	.globl	_ZN9rocsolver6v33100L18larfg_kernel_smallILi128E19rocblas_complex_numIdEidPKPS3_EEvT1_T3_llPT2_llS8_lS7_lPT0_l ; -- Begin function _ZN9rocsolver6v33100L18larfg_kernel_smallILi128E19rocblas_complex_numIdEidPKPS3_EEvT1_T3_llPT2_llS8_lS7_lPT0_l
	.p2align	8
	.type	_ZN9rocsolver6v33100L18larfg_kernel_smallILi128E19rocblas_complex_numIdEidPKPS3_EEvT1_T3_llPT2_llS8_lS7_lPT0_l,@function
_ZN9rocsolver6v33100L18larfg_kernel_smallILi128E19rocblas_complex_numIdEidPKPS3_EEvT1_T3_llPT2_llS8_lS7_lPT0_l: ; @_ZN9rocsolver6v33100L18larfg_kernel_smallILi128E19rocblas_complex_numIdEidPKPS3_EEvT1_T3_llPT2_llS8_lS7_lPT0_l
; %bb.0:
	s_mov_b32 s16, s15
	s_clause 0x1
	s_load_b128 s[12:15], s[0:1], 0x8
	s_load_b256 s[4:11], s[0:1], 0x20
	s_ashr_i32 s17, s16, 31
	s_delay_alu instid0(SALU_CYCLE_1)
	s_lshl_b64 s[18:19], s[16:17], 3
	s_waitcnt lgkmcnt(0)
	s_add_u32 s2, s12, s18
	s_addc_u32 s3, s13, s19
	s_add_u32 s10, s10, s18
	s_addc_u32 s11, s11, s19
	s_load_b64 s[18:19], s[0:1], 0x40
	s_load_b64 s[12:13], s[10:11], 0x0
	s_cmp_eq_u64 s[4:5], 0
	s_mov_b64 s[10:11], 0
	s_cbranch_scc1 .LBB6_2
; %bb.1:
	s_mul_i32 s9, s16, s9
	s_mul_hi_u32 s10, s16, s8
	s_delay_alu instid0(SALU_CYCLE_1) | instskip(SKIP_3) | instid1(SALU_CYCLE_1)
	s_add_i32 s9, s10, s9
	s_mul_i32 s10, s17, s8
	s_mul_i32 s8, s16, s8
	s_add_i32 s9, s9, s10
	s_lshl_b64 s[8:9], s[8:9], 3
	s_delay_alu instid0(SALU_CYCLE_1) | instskip(SKIP_2) | instid1(SALU_CYCLE_1)
	s_add_u32 s8, s4, s8
	s_addc_u32 s9, s5, s9
	s_lshl_b64 s[4:5], s[6:7], 3
	s_add_u32 s10, s8, s4
	s_addc_u32 s11, s9, s5
.LBB6_2:
	s_clause 0x1
	s_load_b32 s6, s[0:1], 0x0
	s_load_b32 s20, s[0:1], 0x48
	s_load_b64 s[4:5], s[2:3], 0x0
	v_mov_b32_e32 v1, 0
	s_waitcnt lgkmcnt(0)
	s_lshl_b64 s[2:3], s[18:19], 4
	v_mov_b32_e32 v2, 0
	s_add_u32 s12, s12, s2
	s_addc_u32 s13, s13, s3
	s_delay_alu instid0(VALU_DEP_1) | instskip(SKIP_3) | instid1(VALU_DEP_1)
	v_dual_mov_b32 v4, v2 :: v_dual_mov_b32 v3, v1
	s_add_i32 s18, s6, -1
	v_mul_lo_u32 v5, v0, s20
	v_cmp_gt_i32_e64 s2, s18, v0
	s_and_saveexec_b32 s3, s2
	s_cbranch_execz .LBB6_6
; %bb.3:
	v_dual_mov_b32 v1, 0 :: v_dual_mov_b32 v8, v0
	v_mov_b32_e32 v2, 0
	v_mul_lo_u32 v6, v0, s20
	s_lshl_b32 s7, s20, 7
	s_mov_b32 s6, 0
	s_delay_alu instid0(VALU_DEP_2)
	v_dual_mov_b32 v4, v2 :: v_dual_mov_b32 v3, v1
	.p2align	6
.LBB6_4:                                ; =>This Inner Loop Header: Depth=1
	s_delay_alu instid0(VALU_DEP_2) | instskip(SKIP_1) | instid1(VALU_DEP_2)
	v_ashrrev_i32_e32 v7, 31, v6
	v_add_nc_u32_e32 v8, 0x80, v8
	v_lshlrev_b64 v[9:10], 4, v[6:7]
	v_add_nc_u32_e32 v6, s7, v6
	s_delay_alu instid0(VALU_DEP_2) | instskip(NEXT) | instid1(VALU_DEP_3)
	v_add_co_u32 v9, vcc_lo, s12, v9
	v_add_co_ci_u32_e32 v10, vcc_lo, s13, v10, vcc_lo
	v_cmp_le_i32_e32 vcc_lo, s18, v8
	global_load_b128 v[9:12], v[9:10], off
	s_or_b32 s6, vcc_lo, s6
	s_waitcnt vmcnt(0)
	v_mul_f64 v[13:14], v[11:12], v[11:12]
	v_mul_f64 v[15:16], v[9:10], v[11:12]
	s_delay_alu instid0(VALU_DEP_2) | instskip(NEXT) | instid1(VALU_DEP_2)
	v_fma_f64 v[13:14], v[9:10], v[9:10], v[13:14]
	v_fma_f64 v[9:10], v[9:10], v[11:12], -v[15:16]
	s_delay_alu instid0(VALU_DEP_2) | instskip(NEXT) | instid1(VALU_DEP_2)
	v_add_f64 v[3:4], v[3:4], v[13:14]
	v_add_f64 v[1:2], v[1:2], v[9:10]
	s_and_not1_b32 exec_lo, exec_lo, s6
	s_cbranch_execnz .LBB6_4
; %bb.5:
	s_or_b32 exec_lo, exec_lo, s6
.LBB6_6:
	s_delay_alu instid0(SALU_CYCLE_1) | instskip(SKIP_2) | instid1(VALU_DEP_1)
	s_or_b32 exec_lo, exec_lo, s3
	v_mbcnt_lo_u32_b32 v10, -1, 0
	s_mov_b32 s3, exec_lo
	v_cmp_ne_u32_e32 vcc_lo, 31, v10
	v_add_co_ci_u32_e32 v6, vcc_lo, 0, v10, vcc_lo
	v_cmp_gt_u32_e32 vcc_lo, 30, v10
	s_delay_alu instid0(VALU_DEP_2)
	v_lshlrev_b32_e32 v9, 2, v6
	ds_bpermute_b32 v6, v9, v3
	ds_bpermute_b32 v7, v9, v4
	ds_bpermute_b32 v8, v9, v1
	ds_bpermute_b32 v9, v9, v2
	s_waitcnt lgkmcnt(2)
	v_add_f64 v[3:4], v[3:4], v[6:7]
	v_cndmask_b32_e64 v6, 0, 1, vcc_lo
	s_waitcnt lgkmcnt(0)
	v_add_f64 v[1:2], v[1:2], v[8:9]
	v_cmp_gt_u32_e32 vcc_lo, 28, v10
	s_delay_alu instid0(VALU_DEP_3) | instskip(NEXT) | instid1(VALU_DEP_1)
	v_lshlrev_b32_e32 v6, 1, v6
	v_add_lshl_u32 v9, v6, v10, 2
	ds_bpermute_b32 v6, v9, v3
	ds_bpermute_b32 v7, v9, v4
	ds_bpermute_b32 v8, v9, v1
	ds_bpermute_b32 v9, v9, v2
	s_waitcnt lgkmcnt(2)
	v_add_f64 v[3:4], v[3:4], v[6:7]
	v_cndmask_b32_e64 v6, 0, 1, vcc_lo
	s_waitcnt lgkmcnt(0)
	v_add_f64 v[1:2], v[1:2], v[8:9]
	v_cmp_gt_u32_e32 vcc_lo, 24, v10
	s_delay_alu instid0(VALU_DEP_3) | instskip(NEXT) | instid1(VALU_DEP_1)
	v_lshlrev_b32_e32 v6, 2, v6
	v_add_lshl_u32 v9, v6, v10, 2
	;; [unrolled: 13-line block ×3, first 2 shown]
	ds_bpermute_b32 v6, v9, v3
	ds_bpermute_b32 v7, v9, v4
	;; [unrolled: 1-line block ×4, first 2 shown]
	s_waitcnt lgkmcnt(2)
	v_add_f64 v[3:4], v[3:4], v[6:7]
	s_waitcnt lgkmcnt(0)
	v_add_f64 v[6:7], v[1:2], v[8:9]
	v_cndmask_b32_e64 v1, 0, 1, vcc_lo
	s_delay_alu instid0(VALU_DEP_1) | instskip(NEXT) | instid1(VALU_DEP_1)
	v_lshlrev_b32_e32 v1, 4, v1
	v_add_lshl_u32 v9, v1, v10, 2
	ds_bpermute_b32 v1, v9, v3
	ds_bpermute_b32 v2, v9, v4
	;; [unrolled: 1-line block ×4, first 2 shown]
	s_waitcnt lgkmcnt(2)
	v_add_f64 v[1:2], v[3:4], v[1:2]
	s_waitcnt lgkmcnt(0)
	v_add_f64 v[3:4], v[6:7], v[8:9]
	v_and_b32_e32 v6, 31, v0
	s_delay_alu instid0(VALU_DEP_1)
	v_cmpx_eq_u32_e32 0, v6
	s_cbranch_execz .LBB6_8
; %bb.7:
	v_lshrrev_b32_e32 v6, 1, v0
	ds_store_b128 v6, v[1:4]
.LBB6_8:
	s_or_b32 exec_lo, exec_lo, s3
	v_cmp_eq_u32_e32 vcc_lo, 0, v0
	s_waitcnt lgkmcnt(0)
	s_barrier
	buffer_gl0_inv
	s_and_saveexec_b32 s3, vcc_lo
	s_cbranch_execz .LBB6_10
; %bb.9:
	v_mov_b32_e32 v14, 0
	ds_load_b128 v[6:9], v14 offset:16
	ds_load_b128 v[10:13], v14 offset:32
	s_waitcnt lgkmcnt(1)
	v_add_f64 v[1:2], v[1:2], v[6:7]
	v_add_f64 v[3:4], v[3:4], v[8:9]
	s_waitcnt lgkmcnt(0)
	s_delay_alu instid0(VALU_DEP_2) | instskip(NEXT) | instid1(VALU_DEP_2)
	v_add_f64 v[6:7], v[1:2], v[10:11]
	v_add_f64 v[8:9], v[3:4], v[12:13]
	ds_load_b128 v[1:4], v14 offset:48
	s_waitcnt lgkmcnt(0)
	v_add_f64 v[1:2], v[6:7], v[1:2]
	v_add_f64 v[3:4], v[8:9], v[3:4]
	ds_store_b128 v14, v[1:4]
.LBB6_10:
	s_or_b32 exec_lo, exec_lo, s3
	s_waitcnt lgkmcnt(0)
	s_barrier
	buffer_gl0_inv
	s_and_saveexec_b32 s19, vcc_lo
	s_cbranch_execz .LBB6_20
; %bb.11:
	s_lshl_b64 s[6:7], s[14:15], 4
	v_mov_b32_e32 v1, 0
	s_add_u32 s4, s4, s6
	s_addc_u32 s5, s5, s7
	s_load_b128 s[24:27], s[0:1], 0x58
	s_load_b64 s[8:9], s[4:5], 0x8
	ds_load_b64 v[8:9], v1
	s_waitcnt lgkmcnt(0)
	s_mul_i32 s0, s16, s27
	v_mul_f64 v[6:7], s[8:9], s[8:9]
	v_max_f64 v[2:3], v[8:9], v[8:9]
	s_mul_hi_u32 s1, s16, s26
	s_delay_alu instid0(SALU_CYCLE_1) | instskip(SKIP_1) | instid1(SALU_CYCLE_1)
	s_add_i32 s0, s1, s0
	s_mul_i32 s1, s17, s26
	s_add_i32 s1, s0, s1
	s_mul_i32 s0, s16, s26
	s_delay_alu instid0(SALU_CYCLE_1) | instskip(NEXT) | instid1(SALU_CYCLE_1)
	s_lshl_b64 s[0:1], s[0:1], 4
	s_add_u32 s6, s24, s0
	s_addc_u32 s7, s25, s1
	s_cmp_eq_u64 s[10:11], 0
	s_mov_b32 s0, 0
	s_cselect_b32 s14, -1, 0
	s_cmp_lg_u64 s[10:11], 0
	s_cselect_b32 s15, -1, 0
	s_delay_alu instid0(VALU_DEP_1) | instskip(NEXT) | instid1(VALU_DEP_1)
	v_max_f64 v[2:3], v[2:3], v[6:7]
	v_cmp_nlt_f64_e32 vcc_lo, 0, v[2:3]
	s_cbranch_vccz .LBB6_14
; %bb.12:
	v_dual_mov_b32 v2, 0x3ff00000 :: v_dual_mov_b32 v3, v1
	v_mov_b32_e32 v4, v1
	s_mov_b32 s3, 0
	s_and_b32 vcc_lo, exec_lo, s15
	ds_store_b128 v1, v[1:4]
	v_mov_b32_e32 v2, v1
	global_store_b128 v1, v[1:4], s[6:7]
                                        ; implicit-def: $vgpr3_vgpr4
	s_cbranch_vccz .LBB6_15
; %bb.13:
	v_mov_b32_e32 v1, 0
	s_mov_b32 s1, -1
	global_load_b64 v[1:2], v1, s[4:5]
	s_and_b32 vcc_lo, exec_lo, s3
	s_cbranch_vccnz .LBB6_16
	s_branch .LBB6_17
.LBB6_14:
	s_mov_b32 s3, -1
.LBB6_15:
	s_mov_b32 s1, 0
                                        ; implicit-def: $vgpr1_vgpr2
	s_and_b32 vcc_lo, exec_lo, s3
	s_cbranch_vccz .LBB6_17
.LBB6_16:
	v_mov_b32_e32 v42, 0
	global_load_b64 v[3:4], v42, s[4:5]
	s_waitcnt vmcnt(0)
	v_fma_f64 v[1:2], v[3:4], v[3:4], v[6:7]
	s_delay_alu instid0(VALU_DEP_1) | instskip(NEXT) | instid1(VALU_DEP_1)
	v_add_f64 v[1:2], v[8:9], v[1:2]
	v_cmp_gt_f64_e32 vcc_lo, 0x10000000, v[1:2]
	v_cndmask_b32_e64 v8, 0, 1, vcc_lo
	s_and_b32 s0, vcc_lo, exec_lo
	s_cselect_b32 s0, 0xffffff80, 0
	s_delay_alu instid0(VALU_DEP_1) | instskip(NEXT) | instid1(VALU_DEP_1)
	v_lshlrev_b32_e32 v8, 8, v8
	v_ldexp_f64 v[1:2], v[1:2], v8
	s_delay_alu instid0(VALU_DEP_1) | instskip(SKIP_4) | instid1(VALU_DEP_1)
	v_rsq_f64_e32 v[8:9], v[1:2]
	v_cmp_class_f64_e64 vcc_lo, v[1:2], 0x260
	s_waitcnt_depctr 0xfff
	v_mul_f64 v[10:11], v[1:2], v[8:9]
	v_mul_f64 v[8:9], v[8:9], 0.5
	v_fma_f64 v[12:13], -v[8:9], v[10:11], 0.5
	s_delay_alu instid0(VALU_DEP_1) | instskip(SKIP_1) | instid1(VALU_DEP_2)
	v_fma_f64 v[10:11], v[10:11], v[12:13], v[10:11]
	v_fma_f64 v[8:9], v[8:9], v[12:13], v[8:9]
	v_fma_f64 v[12:13], -v[10:11], v[10:11], v[1:2]
	s_delay_alu instid0(VALU_DEP_1) | instskip(NEXT) | instid1(VALU_DEP_1)
	v_fma_f64 v[10:11], v[12:13], v[8:9], v[10:11]
	v_fma_f64 v[12:13], -v[10:11], v[10:11], v[1:2]
	s_delay_alu instid0(VALU_DEP_1) | instskip(NEXT) | instid1(VALU_DEP_1)
	v_fma_f64 v[8:9], v[12:13], v[8:9], v[10:11]
	v_ldexp_f64 v[8:9], v[8:9], s0
	s_delay_alu instid0(VALU_DEP_1) | instskip(SKIP_1) | instid1(VALU_DEP_2)
	v_dual_cndmask_b32 v1, v8, v1 :: v_dual_cndmask_b32 v2, v9, v2
	v_cmp_le_f64_e32 vcc_lo, 0, v[3:4]
	v_xor_b32_e32 v8, 0x80000000, v2
	s_delay_alu instid0(VALU_DEP_1) | instskip(NEXT) | instid1(VALU_DEP_1)
	v_cndmask_b32_e32 v2, v2, v8, vcc_lo
	v_add_f64 v[8:9], v[3:4], -v[1:2]
	v_add_f64 v[3:4], v[1:2], -v[3:4]
	v_div_scale_f64 v[16:17], null, v[1:2], v[1:2], -s[8:9]
	s_delay_alu instid0(VALU_DEP_3) | instskip(NEXT) | instid1(VALU_DEP_3)
	v_fma_f64 v[10:11], v[8:9], v[8:9], v[6:7]
	v_div_scale_f64 v[14:15], null, v[1:2], v[1:2], v[3:4]
	s_delay_alu instid0(VALU_DEP_3) | instskip(NEXT) | instid1(VALU_DEP_2)
	v_rcp_f64_e32 v[24:25], v[16:17]
	v_div_scale_f64 v[6:7], null, v[10:11], v[10:11], v[8:9]
	v_div_scale_f64 v[12:13], null, v[10:11], v[10:11], -s[8:9]
	s_delay_alu instid0(VALU_DEP_3)
	v_rcp_f64_e32 v[22:23], v[14:15]
	s_waitcnt_depctr 0xfff
	v_fma_f64 v[32:33], -v[16:17], v[24:25], 1.0
	v_div_scale_f64 v[34:35], vcc_lo, v[8:9], v[10:11], v[8:9]
	v_rcp_f64_e32 v[18:19], v[6:7]
	v_rcp_f64_e32 v[20:21], v[12:13]
	s_delay_alu instid0(VALU_DEP_2)
	v_fma_f64 v[24:25], v[24:25], v[32:33], v[24:25]
	v_fma_f64 v[30:31], -v[14:15], v[22:23], 1.0
	s_waitcnt_depctr 0xfff
	v_fma_f64 v[26:27], -v[6:7], v[18:19], 1.0
	v_fma_f64 v[28:29], -v[12:13], v[20:21], 1.0
	;; [unrolled: 1-line block ×3, first 2 shown]
	v_fma_f64 v[22:23], v[22:23], v[30:31], v[22:23]
	s_delay_alu instid0(VALU_DEP_4) | instskip(NEXT) | instid1(VALU_DEP_4)
	v_fma_f64 v[18:19], v[18:19], v[26:27], v[18:19]
	v_fma_f64 v[20:21], v[20:21], v[28:29], v[20:21]
	s_delay_alu instid0(VALU_DEP_4) | instskip(NEXT) | instid1(VALU_DEP_4)
	v_fma_f64 v[24:25], v[24:25], v[32:33], v[24:25]
	v_fma_f64 v[30:31], -v[14:15], v[22:23], 1.0
	s_delay_alu instid0(VALU_DEP_4) | instskip(NEXT) | instid1(VALU_DEP_4)
	v_fma_f64 v[26:27], -v[6:7], v[18:19], 1.0
	v_fma_f64 v[28:29], -v[12:13], v[20:21], 1.0
	s_delay_alu instid0(VALU_DEP_3) | instskip(SKIP_1) | instid1(VALU_DEP_4)
	v_fma_f64 v[22:23], v[22:23], v[30:31], v[22:23]
	v_div_scale_f64 v[30:31], s3, -s[8:9], v[1:2], -s[8:9]
	v_fma_f64 v[18:19], v[18:19], v[26:27], v[18:19]
	v_div_scale_f64 v[26:27], s0, -s[8:9], v[10:11], -s[8:9]
	v_fma_f64 v[20:21], v[20:21], v[28:29], v[20:21]
	v_div_scale_f64 v[28:29], s1, v[3:4], v[1:2], v[3:4]
	v_mul_f64 v[40:41], v[30:31], v[24:25]
	v_mul_f64 v[32:33], v[34:35], v[18:19]
	s_delay_alu instid0(VALU_DEP_4) | instskip(NEXT) | instid1(VALU_DEP_4)
	v_mul_f64 v[36:37], v[26:27], v[20:21]
	v_mul_f64 v[38:39], v[28:29], v[22:23]
	s_delay_alu instid0(VALU_DEP_4) | instskip(NEXT) | instid1(VALU_DEP_4)
	v_fma_f64 v[16:17], -v[16:17], v[40:41], v[30:31]
	v_fma_f64 v[6:7], -v[6:7], v[32:33], v[34:35]
	s_delay_alu instid0(VALU_DEP_4) | instskip(NEXT) | instid1(VALU_DEP_4)
	v_fma_f64 v[12:13], -v[12:13], v[36:37], v[26:27]
	v_fma_f64 v[14:15], -v[14:15], v[38:39], v[28:29]
	s_delay_alu instid0(VALU_DEP_3) | instskip(SKIP_2) | instid1(VALU_DEP_3)
	v_div_fmas_f64 v[6:7], v[6:7], v[18:19], v[32:33]
	s_mov_b32 vcc_lo, s0
	s_mov_b32 s0, s14
	v_div_fmas_f64 v[12:13], v[12:13], v[20:21], v[36:37]
	s_mov_b32 vcc_lo, s1
	s_mov_b32 s1, s15
	s_delay_alu instid0(VALU_DEP_3) | instskip(SKIP_2) | instid1(VALU_DEP_4)
	v_div_fmas_f64 v[14:15], v[14:15], v[22:23], v[38:39]
	s_mov_b32 vcc_lo, s3
	v_div_fmas_f64 v[16:17], v[16:17], v[24:25], v[40:41]
	v_div_fixup_f64 v[6:7], v[6:7], v[10:11], v[8:9]
	s_delay_alu instid0(VALU_DEP_4) | instskip(NEXT) | instid1(VALU_DEP_4)
	v_div_fixup_f64 v[8:9], v[12:13], v[10:11], -s[8:9]
	v_div_fixup_f64 v[10:11], v[14:15], v[1:2], v[3:4]
	s_delay_alu instid0(VALU_DEP_4)
	v_div_fixup_f64 v[12:13], v[16:17], v[1:2], -s[8:9]
	ds_store_b128 v42, v[6:9]
	global_store_b128 v42, v[10:13], s[6:7]
.LBB6_17:
	s_and_not1_b32 vcc_lo, exec_lo, s1
	s_cbranch_vccz .LBB6_24
; %bb.18:
	s_and_not1_b32 vcc_lo, exec_lo, s0
	s_cbranch_vccnz .LBB6_20
.LBB6_19:
	v_mov_b32_e32 v3, 0
	s_delay_alu instid0(VALU_DEP_1)
	v_mov_b32_e32 v4, v3
	s_waitcnt vmcnt(0)
	global_store_b128 v3, v[1:4], s[4:5]
.LBB6_20:
	s_or_b32 exec_lo, exec_lo, s19
	s_waitcnt vmcnt(0) lgkmcnt(0)
	s_waitcnt_vscnt null, 0x0
	s_barrier
	buffer_gl0_inv
	s_and_saveexec_b32 s0, s2
	s_cbranch_execz .LBB6_23
; %bb.21:
	v_mov_b32_e32 v1, 0
	s_lshl_b32 s0, s20, 7
	s_mov_b32 s1, 0
	ds_load_b128 v[1:4], v1
	.p2align	6
.LBB6_22:                               ; =>This Inner Loop Header: Depth=1
	v_ashrrev_i32_e32 v6, 31, v5
	v_add_nc_u32_e32 v0, 0x80, v0
	s_delay_alu instid0(VALU_DEP_2) | instskip(SKIP_1) | instid1(VALU_DEP_2)
	v_lshlrev_b64 v[6:7], 4, v[5:6]
	v_add_nc_u32_e32 v5, s0, v5
	v_add_co_u32 v12, vcc_lo, s12, v6
	s_delay_alu instid0(VALU_DEP_3)
	v_add_co_ci_u32_e32 v13, vcc_lo, s13, v7, vcc_lo
	v_cmp_le_i32_e32 vcc_lo, s18, v0
	global_load_b128 v[6:9], v[12:13], off
	s_or_b32 s1, vcc_lo, s1
	s_waitcnt vmcnt(0) lgkmcnt(0)
	v_mul_f64 v[10:11], v[3:4], v[8:9]
	v_mul_f64 v[14:15], v[1:2], v[8:9]
	s_delay_alu instid0(VALU_DEP_2) | instskip(NEXT) | instid1(VALU_DEP_2)
	v_fma_f64 v[8:9], v[1:2], v[6:7], -v[10:11]
	v_fma_f64 v[10:11], v[3:4], v[6:7], v[14:15]
	global_store_b128 v[12:13], v[8:11], off
	s_and_not1_b32 exec_lo, exec_lo, s1
	s_cbranch_execnz .LBB6_22
.LBB6_23:
	s_nop 0
	s_sendmsg sendmsg(MSG_DEALLOC_VGPRS)
	s_endpgm
.LBB6_24:
	v_dual_mov_b32 v3, s10 :: v_dual_mov_b32 v4, s11
	s_waitcnt vmcnt(0)
	flat_store_b64 v[3:4], v[1:2]
	v_mov_b32_e32 v1, 0
	v_mov_b32_e32 v2, 0x3ff00000
	s_branch .LBB6_19
	.section	.rodata,"a",@progbits
	.p2align	6, 0x0
	.amdhsa_kernel _ZN9rocsolver6v33100L18larfg_kernel_smallILi128E19rocblas_complex_numIdEidPKPS3_EEvT1_T3_llPT2_llS8_lS7_lPT0_l
		.amdhsa_group_segment_fixed_size 64
		.amdhsa_private_segment_fixed_size 0
		.amdhsa_kernarg_size 104
		.amdhsa_user_sgpr_count 14
		.amdhsa_user_sgpr_dispatch_ptr 0
		.amdhsa_user_sgpr_queue_ptr 0
		.amdhsa_user_sgpr_kernarg_segment_ptr 1
		.amdhsa_user_sgpr_dispatch_id 0
		.amdhsa_user_sgpr_private_segment_size 0
		.amdhsa_wavefront_size32 1
		.amdhsa_uses_dynamic_stack 0
		.amdhsa_enable_private_segment 0
		.amdhsa_system_sgpr_workgroup_id_x 1
		.amdhsa_system_sgpr_workgroup_id_y 0
		.amdhsa_system_sgpr_workgroup_id_z 1
		.amdhsa_system_sgpr_workgroup_info 0
		.amdhsa_system_vgpr_workitem_id 0
		.amdhsa_next_free_vgpr 43
		.amdhsa_next_free_sgpr 28
		.amdhsa_reserve_vcc 1
		.amdhsa_float_round_mode_32 0
		.amdhsa_float_round_mode_16_64 0
		.amdhsa_float_denorm_mode_32 3
		.amdhsa_float_denorm_mode_16_64 3
		.amdhsa_dx10_clamp 1
		.amdhsa_ieee_mode 1
		.amdhsa_fp16_overflow 0
		.amdhsa_workgroup_processor_mode 1
		.amdhsa_memory_ordered 1
		.amdhsa_forward_progress 0
		.amdhsa_shared_vgpr_count 0
		.amdhsa_exception_fp_ieee_invalid_op 0
		.amdhsa_exception_fp_denorm_src 0
		.amdhsa_exception_fp_ieee_div_zero 0
		.amdhsa_exception_fp_ieee_overflow 0
		.amdhsa_exception_fp_ieee_underflow 0
		.amdhsa_exception_fp_ieee_inexact 0
		.amdhsa_exception_int_div_zero 0
	.end_amdhsa_kernel
	.section	.text._ZN9rocsolver6v33100L18larfg_kernel_smallILi128E19rocblas_complex_numIdEidPKPS3_EEvT1_T3_llPT2_llS8_lS7_lPT0_l,"axG",@progbits,_ZN9rocsolver6v33100L18larfg_kernel_smallILi128E19rocblas_complex_numIdEidPKPS3_EEvT1_T3_llPT2_llS8_lS7_lPT0_l,comdat
.Lfunc_end6:
	.size	_ZN9rocsolver6v33100L18larfg_kernel_smallILi128E19rocblas_complex_numIdEidPKPS3_EEvT1_T3_llPT2_llS8_lS7_lPT0_l, .Lfunc_end6-_ZN9rocsolver6v33100L18larfg_kernel_smallILi128E19rocblas_complex_numIdEidPKPS3_EEvT1_T3_llPT2_llS8_lS7_lPT0_l
                                        ; -- End function
	.section	.AMDGPU.csdata,"",@progbits
; Kernel info:
; codeLenInByte = 2204
; NumSgprs: 30
; NumVgprs: 43
; ScratchSize: 0
; MemoryBound: 0
; FloatMode: 240
; IeeeMode: 1
; LDSByteSize: 64 bytes/workgroup (compile time only)
; SGPRBlocks: 3
; VGPRBlocks: 5
; NumSGPRsForWavesPerEU: 30
; NumVGPRsForWavesPerEU: 43
; Occupancy: 16
; WaveLimiterHint : 1
; COMPUTE_PGM_RSRC2:SCRATCH_EN: 0
; COMPUTE_PGM_RSRC2:USER_SGPR: 14
; COMPUTE_PGM_RSRC2:TRAP_HANDLER: 0
; COMPUTE_PGM_RSRC2:TGID_X_EN: 1
; COMPUTE_PGM_RSRC2:TGID_Y_EN: 0
; COMPUTE_PGM_RSRC2:TGID_Z_EN: 1
; COMPUTE_PGM_RSRC2:TIDIG_COMP_CNT: 0
	.section	.text._ZN9rocsolver6v33100L18larfg_kernel_smallILi256E19rocblas_complex_numIdEidPKPS3_EEvT1_T3_llPT2_llS8_lS7_lPT0_l,"axG",@progbits,_ZN9rocsolver6v33100L18larfg_kernel_smallILi256E19rocblas_complex_numIdEidPKPS3_EEvT1_T3_llPT2_llS8_lS7_lPT0_l,comdat
	.globl	_ZN9rocsolver6v33100L18larfg_kernel_smallILi256E19rocblas_complex_numIdEidPKPS3_EEvT1_T3_llPT2_llS8_lS7_lPT0_l ; -- Begin function _ZN9rocsolver6v33100L18larfg_kernel_smallILi256E19rocblas_complex_numIdEidPKPS3_EEvT1_T3_llPT2_llS8_lS7_lPT0_l
	.p2align	8
	.type	_ZN9rocsolver6v33100L18larfg_kernel_smallILi256E19rocblas_complex_numIdEidPKPS3_EEvT1_T3_llPT2_llS8_lS7_lPT0_l,@function
_ZN9rocsolver6v33100L18larfg_kernel_smallILi256E19rocblas_complex_numIdEidPKPS3_EEvT1_T3_llPT2_llS8_lS7_lPT0_l: ; @_ZN9rocsolver6v33100L18larfg_kernel_smallILi256E19rocblas_complex_numIdEidPKPS3_EEvT1_T3_llPT2_llS8_lS7_lPT0_l
; %bb.0:
	s_mov_b32 s16, s15
	s_clause 0x1
	s_load_b128 s[12:15], s[0:1], 0x8
	s_load_b256 s[4:11], s[0:1], 0x20
	s_ashr_i32 s17, s16, 31
	s_delay_alu instid0(SALU_CYCLE_1)
	s_lshl_b64 s[18:19], s[16:17], 3
	s_waitcnt lgkmcnt(0)
	s_add_u32 s2, s12, s18
	s_addc_u32 s3, s13, s19
	s_add_u32 s10, s10, s18
	s_addc_u32 s11, s11, s19
	s_load_b64 s[18:19], s[0:1], 0x40
	s_load_b64 s[12:13], s[10:11], 0x0
	s_cmp_eq_u64 s[4:5], 0
	s_mov_b64 s[10:11], 0
	s_cbranch_scc1 .LBB7_2
; %bb.1:
	s_mul_i32 s9, s16, s9
	s_mul_hi_u32 s10, s16, s8
	s_delay_alu instid0(SALU_CYCLE_1) | instskip(SKIP_3) | instid1(SALU_CYCLE_1)
	s_add_i32 s9, s10, s9
	s_mul_i32 s10, s17, s8
	s_mul_i32 s8, s16, s8
	s_add_i32 s9, s9, s10
	s_lshl_b64 s[8:9], s[8:9], 3
	s_delay_alu instid0(SALU_CYCLE_1) | instskip(SKIP_2) | instid1(SALU_CYCLE_1)
	s_add_u32 s8, s4, s8
	s_addc_u32 s9, s5, s9
	s_lshl_b64 s[4:5], s[6:7], 3
	s_add_u32 s10, s8, s4
	s_addc_u32 s11, s9, s5
.LBB7_2:
	s_clause 0x1
	s_load_b32 s6, s[0:1], 0x0
	s_load_b32 s20, s[0:1], 0x48
	s_load_b64 s[4:5], s[2:3], 0x0
	v_mov_b32_e32 v1, 0
	s_waitcnt lgkmcnt(0)
	s_lshl_b64 s[2:3], s[18:19], 4
	v_mov_b32_e32 v2, 0
	s_add_u32 s12, s12, s2
	s_addc_u32 s13, s13, s3
	s_delay_alu instid0(VALU_DEP_1) | instskip(SKIP_3) | instid1(VALU_DEP_1)
	v_dual_mov_b32 v4, v2 :: v_dual_mov_b32 v3, v1
	s_add_i32 s18, s6, -1
	v_mul_lo_u32 v5, v0, s20
	v_cmp_gt_i32_e64 s2, s18, v0
	s_and_saveexec_b32 s3, s2
	s_cbranch_execz .LBB7_6
; %bb.3:
	v_dual_mov_b32 v1, 0 :: v_dual_mov_b32 v8, v0
	v_mov_b32_e32 v2, 0
	v_mul_lo_u32 v6, v0, s20
	s_lshl_b32 s7, s20, 8
	s_mov_b32 s6, 0
	s_delay_alu instid0(VALU_DEP_2)
	v_dual_mov_b32 v4, v2 :: v_dual_mov_b32 v3, v1
	.p2align	6
.LBB7_4:                                ; =>This Inner Loop Header: Depth=1
	s_delay_alu instid0(VALU_DEP_2) | instskip(SKIP_1) | instid1(VALU_DEP_2)
	v_ashrrev_i32_e32 v7, 31, v6
	v_add_nc_u32_e32 v8, 0x100, v8
	v_lshlrev_b64 v[9:10], 4, v[6:7]
	v_add_nc_u32_e32 v6, s7, v6
	s_delay_alu instid0(VALU_DEP_2) | instskip(NEXT) | instid1(VALU_DEP_3)
	v_add_co_u32 v9, vcc_lo, s12, v9
	v_add_co_ci_u32_e32 v10, vcc_lo, s13, v10, vcc_lo
	v_cmp_le_i32_e32 vcc_lo, s18, v8
	global_load_b128 v[9:12], v[9:10], off
	s_or_b32 s6, vcc_lo, s6
	s_waitcnt vmcnt(0)
	v_mul_f64 v[13:14], v[11:12], v[11:12]
	v_mul_f64 v[15:16], v[9:10], v[11:12]
	s_delay_alu instid0(VALU_DEP_2) | instskip(NEXT) | instid1(VALU_DEP_2)
	v_fma_f64 v[13:14], v[9:10], v[9:10], v[13:14]
	v_fma_f64 v[9:10], v[9:10], v[11:12], -v[15:16]
	s_delay_alu instid0(VALU_DEP_2) | instskip(NEXT) | instid1(VALU_DEP_2)
	v_add_f64 v[3:4], v[3:4], v[13:14]
	v_add_f64 v[1:2], v[1:2], v[9:10]
	s_and_not1_b32 exec_lo, exec_lo, s6
	s_cbranch_execnz .LBB7_4
; %bb.5:
	s_or_b32 exec_lo, exec_lo, s6
.LBB7_6:
	s_delay_alu instid0(SALU_CYCLE_1) | instskip(SKIP_2) | instid1(VALU_DEP_1)
	s_or_b32 exec_lo, exec_lo, s3
	v_mbcnt_lo_u32_b32 v10, -1, 0
	s_mov_b32 s3, exec_lo
	v_cmp_ne_u32_e32 vcc_lo, 31, v10
	v_add_co_ci_u32_e32 v6, vcc_lo, 0, v10, vcc_lo
	v_cmp_gt_u32_e32 vcc_lo, 30, v10
	s_delay_alu instid0(VALU_DEP_2)
	v_lshlrev_b32_e32 v9, 2, v6
	ds_bpermute_b32 v6, v9, v3
	ds_bpermute_b32 v7, v9, v4
	ds_bpermute_b32 v8, v9, v1
	ds_bpermute_b32 v9, v9, v2
	s_waitcnt lgkmcnt(2)
	v_add_f64 v[3:4], v[3:4], v[6:7]
	v_cndmask_b32_e64 v6, 0, 1, vcc_lo
	s_waitcnt lgkmcnt(0)
	v_add_f64 v[1:2], v[1:2], v[8:9]
	v_cmp_gt_u32_e32 vcc_lo, 28, v10
	s_delay_alu instid0(VALU_DEP_3) | instskip(NEXT) | instid1(VALU_DEP_1)
	v_lshlrev_b32_e32 v6, 1, v6
	v_add_lshl_u32 v9, v6, v10, 2
	ds_bpermute_b32 v6, v9, v3
	ds_bpermute_b32 v7, v9, v4
	ds_bpermute_b32 v8, v9, v1
	ds_bpermute_b32 v9, v9, v2
	s_waitcnt lgkmcnt(2)
	v_add_f64 v[3:4], v[3:4], v[6:7]
	v_cndmask_b32_e64 v6, 0, 1, vcc_lo
	s_waitcnt lgkmcnt(0)
	v_add_f64 v[1:2], v[1:2], v[8:9]
	v_cmp_gt_u32_e32 vcc_lo, 24, v10
	s_delay_alu instid0(VALU_DEP_3) | instskip(NEXT) | instid1(VALU_DEP_1)
	v_lshlrev_b32_e32 v6, 2, v6
	v_add_lshl_u32 v9, v6, v10, 2
	;; [unrolled: 13-line block ×3, first 2 shown]
	ds_bpermute_b32 v6, v9, v3
	ds_bpermute_b32 v7, v9, v4
	;; [unrolled: 1-line block ×4, first 2 shown]
	s_waitcnt lgkmcnt(2)
	v_add_f64 v[3:4], v[3:4], v[6:7]
	s_waitcnt lgkmcnt(0)
	v_add_f64 v[6:7], v[1:2], v[8:9]
	v_cndmask_b32_e64 v1, 0, 1, vcc_lo
	s_delay_alu instid0(VALU_DEP_1) | instskip(NEXT) | instid1(VALU_DEP_1)
	v_lshlrev_b32_e32 v1, 4, v1
	v_add_lshl_u32 v9, v1, v10, 2
	ds_bpermute_b32 v1, v9, v3
	ds_bpermute_b32 v2, v9, v4
	;; [unrolled: 1-line block ×4, first 2 shown]
	s_waitcnt lgkmcnt(2)
	v_add_f64 v[1:2], v[3:4], v[1:2]
	s_waitcnt lgkmcnt(0)
	v_add_f64 v[3:4], v[6:7], v[8:9]
	v_and_b32_e32 v6, 31, v0
	s_delay_alu instid0(VALU_DEP_1)
	v_cmpx_eq_u32_e32 0, v6
	s_cbranch_execz .LBB7_8
; %bb.7:
	v_lshrrev_b32_e32 v6, 1, v0
	ds_store_b128 v6, v[1:4]
.LBB7_8:
	s_or_b32 exec_lo, exec_lo, s3
	v_cmp_eq_u32_e32 vcc_lo, 0, v0
	s_waitcnt lgkmcnt(0)
	s_barrier
	buffer_gl0_inv
	s_and_saveexec_b32 s3, vcc_lo
	s_cbranch_execz .LBB7_10
; %bb.9:
	v_mov_b32_e32 v14, 0
	ds_load_b128 v[6:9], v14 offset:16
	ds_load_b128 v[10:13], v14 offset:32
	s_waitcnt lgkmcnt(1)
	v_add_f64 v[1:2], v[1:2], v[6:7]
	v_add_f64 v[3:4], v[3:4], v[8:9]
	s_waitcnt lgkmcnt(0)
	s_delay_alu instid0(VALU_DEP_2) | instskip(NEXT) | instid1(VALU_DEP_2)
	v_add_f64 v[10:11], v[1:2], v[10:11]
	v_add_f64 v[12:13], v[3:4], v[12:13]
	ds_load_b128 v[1:4], v14 offset:48
	ds_load_b128 v[6:9], v14 offset:64
	s_waitcnt lgkmcnt(1)
	v_add_f64 v[1:2], v[10:11], v[1:2]
	v_add_f64 v[3:4], v[12:13], v[3:4]
	s_waitcnt lgkmcnt(0)
	s_delay_alu instid0(VALU_DEP_2) | instskip(NEXT) | instid1(VALU_DEP_2)
	v_add_f64 v[10:11], v[1:2], v[6:7]
	v_add_f64 v[12:13], v[3:4], v[8:9]
	;; [unrolled: 9-line block ×3, first 2 shown]
	ds_load_b128 v[1:4], v14 offset:112
	s_waitcnt lgkmcnt(0)
	v_add_f64 v[1:2], v[6:7], v[1:2]
	v_add_f64 v[3:4], v[8:9], v[3:4]
	ds_store_b128 v14, v[1:4]
.LBB7_10:
	s_or_b32 exec_lo, exec_lo, s3
	s_waitcnt lgkmcnt(0)
	s_barrier
	buffer_gl0_inv
	s_and_saveexec_b32 s19, vcc_lo
	s_cbranch_execz .LBB7_20
; %bb.11:
	s_lshl_b64 s[6:7], s[14:15], 4
	v_mov_b32_e32 v1, 0
	s_add_u32 s4, s4, s6
	s_addc_u32 s5, s5, s7
	s_load_b128 s[24:27], s[0:1], 0x58
	s_load_b64 s[8:9], s[4:5], 0x8
	ds_load_b64 v[8:9], v1
	s_waitcnt lgkmcnt(0)
	s_mul_i32 s0, s16, s27
	v_mul_f64 v[6:7], s[8:9], s[8:9]
	v_max_f64 v[2:3], v[8:9], v[8:9]
	s_mul_hi_u32 s1, s16, s26
	s_delay_alu instid0(SALU_CYCLE_1) | instskip(SKIP_1) | instid1(SALU_CYCLE_1)
	s_add_i32 s0, s1, s0
	s_mul_i32 s1, s17, s26
	s_add_i32 s1, s0, s1
	s_mul_i32 s0, s16, s26
	s_delay_alu instid0(SALU_CYCLE_1) | instskip(NEXT) | instid1(SALU_CYCLE_1)
	s_lshl_b64 s[0:1], s[0:1], 4
	s_add_u32 s6, s24, s0
	s_addc_u32 s7, s25, s1
	s_cmp_eq_u64 s[10:11], 0
	s_mov_b32 s0, 0
	s_cselect_b32 s14, -1, 0
	s_cmp_lg_u64 s[10:11], 0
	s_cselect_b32 s15, -1, 0
	s_delay_alu instid0(VALU_DEP_1) | instskip(NEXT) | instid1(VALU_DEP_1)
	v_max_f64 v[2:3], v[2:3], v[6:7]
	v_cmp_nlt_f64_e32 vcc_lo, 0, v[2:3]
	s_cbranch_vccz .LBB7_14
; %bb.12:
	v_dual_mov_b32 v2, 0x3ff00000 :: v_dual_mov_b32 v3, v1
	v_mov_b32_e32 v4, v1
	s_mov_b32 s3, 0
	s_and_b32 vcc_lo, exec_lo, s15
	ds_store_b128 v1, v[1:4]
	v_mov_b32_e32 v2, v1
	global_store_b128 v1, v[1:4], s[6:7]
                                        ; implicit-def: $vgpr3_vgpr4
	s_cbranch_vccz .LBB7_15
; %bb.13:
	v_mov_b32_e32 v1, 0
	s_mov_b32 s1, -1
	global_load_b64 v[1:2], v1, s[4:5]
	s_and_b32 vcc_lo, exec_lo, s3
	s_cbranch_vccnz .LBB7_16
	s_branch .LBB7_17
.LBB7_14:
	s_mov_b32 s3, -1
.LBB7_15:
	s_mov_b32 s1, 0
                                        ; implicit-def: $vgpr1_vgpr2
	s_and_b32 vcc_lo, exec_lo, s3
	s_cbranch_vccz .LBB7_17
.LBB7_16:
	v_mov_b32_e32 v42, 0
	global_load_b64 v[3:4], v42, s[4:5]
	s_waitcnt vmcnt(0)
	v_fma_f64 v[1:2], v[3:4], v[3:4], v[6:7]
	s_delay_alu instid0(VALU_DEP_1) | instskip(NEXT) | instid1(VALU_DEP_1)
	v_add_f64 v[1:2], v[8:9], v[1:2]
	v_cmp_gt_f64_e32 vcc_lo, 0x10000000, v[1:2]
	v_cndmask_b32_e64 v8, 0, 1, vcc_lo
	s_and_b32 s0, vcc_lo, exec_lo
	s_cselect_b32 s0, 0xffffff80, 0
	s_delay_alu instid0(VALU_DEP_1) | instskip(NEXT) | instid1(VALU_DEP_1)
	v_lshlrev_b32_e32 v8, 8, v8
	v_ldexp_f64 v[1:2], v[1:2], v8
	s_delay_alu instid0(VALU_DEP_1) | instskip(SKIP_4) | instid1(VALU_DEP_1)
	v_rsq_f64_e32 v[8:9], v[1:2]
	v_cmp_class_f64_e64 vcc_lo, v[1:2], 0x260
	s_waitcnt_depctr 0xfff
	v_mul_f64 v[10:11], v[1:2], v[8:9]
	v_mul_f64 v[8:9], v[8:9], 0.5
	v_fma_f64 v[12:13], -v[8:9], v[10:11], 0.5
	s_delay_alu instid0(VALU_DEP_1) | instskip(SKIP_1) | instid1(VALU_DEP_2)
	v_fma_f64 v[10:11], v[10:11], v[12:13], v[10:11]
	v_fma_f64 v[8:9], v[8:9], v[12:13], v[8:9]
	v_fma_f64 v[12:13], -v[10:11], v[10:11], v[1:2]
	s_delay_alu instid0(VALU_DEP_1) | instskip(NEXT) | instid1(VALU_DEP_1)
	v_fma_f64 v[10:11], v[12:13], v[8:9], v[10:11]
	v_fma_f64 v[12:13], -v[10:11], v[10:11], v[1:2]
	s_delay_alu instid0(VALU_DEP_1) | instskip(NEXT) | instid1(VALU_DEP_1)
	v_fma_f64 v[8:9], v[12:13], v[8:9], v[10:11]
	v_ldexp_f64 v[8:9], v[8:9], s0
	s_delay_alu instid0(VALU_DEP_1) | instskip(SKIP_1) | instid1(VALU_DEP_2)
	v_dual_cndmask_b32 v1, v8, v1 :: v_dual_cndmask_b32 v2, v9, v2
	v_cmp_le_f64_e32 vcc_lo, 0, v[3:4]
	v_xor_b32_e32 v8, 0x80000000, v2
	s_delay_alu instid0(VALU_DEP_1) | instskip(NEXT) | instid1(VALU_DEP_1)
	v_cndmask_b32_e32 v2, v2, v8, vcc_lo
	v_add_f64 v[8:9], v[3:4], -v[1:2]
	v_add_f64 v[3:4], v[1:2], -v[3:4]
	v_div_scale_f64 v[16:17], null, v[1:2], v[1:2], -s[8:9]
	s_delay_alu instid0(VALU_DEP_3) | instskip(NEXT) | instid1(VALU_DEP_3)
	v_fma_f64 v[10:11], v[8:9], v[8:9], v[6:7]
	v_div_scale_f64 v[14:15], null, v[1:2], v[1:2], v[3:4]
	s_delay_alu instid0(VALU_DEP_3) | instskip(NEXT) | instid1(VALU_DEP_2)
	v_rcp_f64_e32 v[24:25], v[16:17]
	v_div_scale_f64 v[6:7], null, v[10:11], v[10:11], v[8:9]
	v_div_scale_f64 v[12:13], null, v[10:11], v[10:11], -s[8:9]
	s_delay_alu instid0(VALU_DEP_3)
	v_rcp_f64_e32 v[22:23], v[14:15]
	s_waitcnt_depctr 0xfff
	v_fma_f64 v[32:33], -v[16:17], v[24:25], 1.0
	v_div_scale_f64 v[34:35], vcc_lo, v[8:9], v[10:11], v[8:9]
	v_rcp_f64_e32 v[18:19], v[6:7]
	v_rcp_f64_e32 v[20:21], v[12:13]
	s_delay_alu instid0(VALU_DEP_2)
	v_fma_f64 v[24:25], v[24:25], v[32:33], v[24:25]
	v_fma_f64 v[30:31], -v[14:15], v[22:23], 1.0
	s_waitcnt_depctr 0xfff
	v_fma_f64 v[26:27], -v[6:7], v[18:19], 1.0
	v_fma_f64 v[28:29], -v[12:13], v[20:21], 1.0
	;; [unrolled: 1-line block ×3, first 2 shown]
	v_fma_f64 v[22:23], v[22:23], v[30:31], v[22:23]
	s_delay_alu instid0(VALU_DEP_4) | instskip(NEXT) | instid1(VALU_DEP_4)
	v_fma_f64 v[18:19], v[18:19], v[26:27], v[18:19]
	v_fma_f64 v[20:21], v[20:21], v[28:29], v[20:21]
	s_delay_alu instid0(VALU_DEP_4) | instskip(NEXT) | instid1(VALU_DEP_4)
	v_fma_f64 v[24:25], v[24:25], v[32:33], v[24:25]
	v_fma_f64 v[30:31], -v[14:15], v[22:23], 1.0
	s_delay_alu instid0(VALU_DEP_4) | instskip(NEXT) | instid1(VALU_DEP_4)
	v_fma_f64 v[26:27], -v[6:7], v[18:19], 1.0
	v_fma_f64 v[28:29], -v[12:13], v[20:21], 1.0
	s_delay_alu instid0(VALU_DEP_3) | instskip(SKIP_1) | instid1(VALU_DEP_4)
	v_fma_f64 v[22:23], v[22:23], v[30:31], v[22:23]
	v_div_scale_f64 v[30:31], s3, -s[8:9], v[1:2], -s[8:9]
	v_fma_f64 v[18:19], v[18:19], v[26:27], v[18:19]
	v_div_scale_f64 v[26:27], s0, -s[8:9], v[10:11], -s[8:9]
	v_fma_f64 v[20:21], v[20:21], v[28:29], v[20:21]
	v_div_scale_f64 v[28:29], s1, v[3:4], v[1:2], v[3:4]
	v_mul_f64 v[40:41], v[30:31], v[24:25]
	v_mul_f64 v[32:33], v[34:35], v[18:19]
	s_delay_alu instid0(VALU_DEP_4) | instskip(NEXT) | instid1(VALU_DEP_4)
	v_mul_f64 v[36:37], v[26:27], v[20:21]
	v_mul_f64 v[38:39], v[28:29], v[22:23]
	s_delay_alu instid0(VALU_DEP_4) | instskip(NEXT) | instid1(VALU_DEP_4)
	v_fma_f64 v[16:17], -v[16:17], v[40:41], v[30:31]
	v_fma_f64 v[6:7], -v[6:7], v[32:33], v[34:35]
	s_delay_alu instid0(VALU_DEP_4) | instskip(NEXT) | instid1(VALU_DEP_4)
	v_fma_f64 v[12:13], -v[12:13], v[36:37], v[26:27]
	v_fma_f64 v[14:15], -v[14:15], v[38:39], v[28:29]
	s_delay_alu instid0(VALU_DEP_3) | instskip(SKIP_2) | instid1(VALU_DEP_3)
	v_div_fmas_f64 v[6:7], v[6:7], v[18:19], v[32:33]
	s_mov_b32 vcc_lo, s0
	s_mov_b32 s0, s14
	v_div_fmas_f64 v[12:13], v[12:13], v[20:21], v[36:37]
	s_mov_b32 vcc_lo, s1
	s_mov_b32 s1, s15
	s_delay_alu instid0(VALU_DEP_3) | instskip(SKIP_2) | instid1(VALU_DEP_4)
	v_div_fmas_f64 v[14:15], v[14:15], v[22:23], v[38:39]
	s_mov_b32 vcc_lo, s3
	v_div_fmas_f64 v[16:17], v[16:17], v[24:25], v[40:41]
	v_div_fixup_f64 v[6:7], v[6:7], v[10:11], v[8:9]
	s_delay_alu instid0(VALU_DEP_4) | instskip(NEXT) | instid1(VALU_DEP_4)
	v_div_fixup_f64 v[8:9], v[12:13], v[10:11], -s[8:9]
	v_div_fixup_f64 v[10:11], v[14:15], v[1:2], v[3:4]
	s_delay_alu instid0(VALU_DEP_4)
	v_div_fixup_f64 v[12:13], v[16:17], v[1:2], -s[8:9]
	ds_store_b128 v42, v[6:9]
	global_store_b128 v42, v[10:13], s[6:7]
.LBB7_17:
	s_and_not1_b32 vcc_lo, exec_lo, s1
	s_cbranch_vccz .LBB7_24
; %bb.18:
	s_and_not1_b32 vcc_lo, exec_lo, s0
	s_cbranch_vccnz .LBB7_20
.LBB7_19:
	v_mov_b32_e32 v3, 0
	s_delay_alu instid0(VALU_DEP_1)
	v_mov_b32_e32 v4, v3
	s_waitcnt vmcnt(0)
	global_store_b128 v3, v[1:4], s[4:5]
.LBB7_20:
	s_or_b32 exec_lo, exec_lo, s19
	s_waitcnt vmcnt(0) lgkmcnt(0)
	s_waitcnt_vscnt null, 0x0
	s_barrier
	buffer_gl0_inv
	s_and_saveexec_b32 s0, s2
	s_cbranch_execz .LBB7_23
; %bb.21:
	v_mov_b32_e32 v1, 0
	s_lshl_b32 s0, s20, 8
	s_mov_b32 s1, 0
	ds_load_b128 v[1:4], v1
	.p2align	6
.LBB7_22:                               ; =>This Inner Loop Header: Depth=1
	v_ashrrev_i32_e32 v6, 31, v5
	v_add_nc_u32_e32 v0, 0x100, v0
	s_delay_alu instid0(VALU_DEP_2) | instskip(SKIP_1) | instid1(VALU_DEP_2)
	v_lshlrev_b64 v[6:7], 4, v[5:6]
	v_add_nc_u32_e32 v5, s0, v5
	v_add_co_u32 v12, vcc_lo, s12, v6
	s_delay_alu instid0(VALU_DEP_3)
	v_add_co_ci_u32_e32 v13, vcc_lo, s13, v7, vcc_lo
	v_cmp_le_i32_e32 vcc_lo, s18, v0
	global_load_b128 v[6:9], v[12:13], off
	s_or_b32 s1, vcc_lo, s1
	s_waitcnt vmcnt(0) lgkmcnt(0)
	v_mul_f64 v[10:11], v[3:4], v[8:9]
	v_mul_f64 v[14:15], v[1:2], v[8:9]
	s_delay_alu instid0(VALU_DEP_2) | instskip(NEXT) | instid1(VALU_DEP_2)
	v_fma_f64 v[8:9], v[1:2], v[6:7], -v[10:11]
	v_fma_f64 v[10:11], v[3:4], v[6:7], v[14:15]
	global_store_b128 v[12:13], v[8:11], off
	s_and_not1_b32 exec_lo, exec_lo, s1
	s_cbranch_execnz .LBB7_22
.LBB7_23:
	s_nop 0
	s_sendmsg sendmsg(MSG_DEALLOC_VGPRS)
	s_endpgm
.LBB7_24:
	v_dual_mov_b32 v3, s10 :: v_dual_mov_b32 v4, s11
	s_waitcnt vmcnt(0)
	flat_store_b64 v[3:4], v[1:2]
	v_mov_b32_e32 v1, 0
	v_mov_b32_e32 v2, 0x3ff00000
	s_branch .LBB7_19
	.section	.rodata,"a",@progbits
	.p2align	6, 0x0
	.amdhsa_kernel _ZN9rocsolver6v33100L18larfg_kernel_smallILi256E19rocblas_complex_numIdEidPKPS3_EEvT1_T3_llPT2_llS8_lS7_lPT0_l
		.amdhsa_group_segment_fixed_size 128
		.amdhsa_private_segment_fixed_size 0
		.amdhsa_kernarg_size 104
		.amdhsa_user_sgpr_count 14
		.amdhsa_user_sgpr_dispatch_ptr 0
		.amdhsa_user_sgpr_queue_ptr 0
		.amdhsa_user_sgpr_kernarg_segment_ptr 1
		.amdhsa_user_sgpr_dispatch_id 0
		.amdhsa_user_sgpr_private_segment_size 0
		.amdhsa_wavefront_size32 1
		.amdhsa_uses_dynamic_stack 0
		.amdhsa_enable_private_segment 0
		.amdhsa_system_sgpr_workgroup_id_x 1
		.amdhsa_system_sgpr_workgroup_id_y 0
		.amdhsa_system_sgpr_workgroup_id_z 1
		.amdhsa_system_sgpr_workgroup_info 0
		.amdhsa_system_vgpr_workitem_id 0
		.amdhsa_next_free_vgpr 43
		.amdhsa_next_free_sgpr 28
		.amdhsa_reserve_vcc 1
		.amdhsa_float_round_mode_32 0
		.amdhsa_float_round_mode_16_64 0
		.amdhsa_float_denorm_mode_32 3
		.amdhsa_float_denorm_mode_16_64 3
		.amdhsa_dx10_clamp 1
		.amdhsa_ieee_mode 1
		.amdhsa_fp16_overflow 0
		.amdhsa_workgroup_processor_mode 1
		.amdhsa_memory_ordered 1
		.amdhsa_forward_progress 0
		.amdhsa_shared_vgpr_count 0
		.amdhsa_exception_fp_ieee_invalid_op 0
		.amdhsa_exception_fp_denorm_src 0
		.amdhsa_exception_fp_ieee_div_zero 0
		.amdhsa_exception_fp_ieee_overflow 0
		.amdhsa_exception_fp_ieee_underflow 0
		.amdhsa_exception_fp_ieee_inexact 0
		.amdhsa_exception_int_div_zero 0
	.end_amdhsa_kernel
	.section	.text._ZN9rocsolver6v33100L18larfg_kernel_smallILi256E19rocblas_complex_numIdEidPKPS3_EEvT1_T3_llPT2_llS8_lS7_lPT0_l,"axG",@progbits,_ZN9rocsolver6v33100L18larfg_kernel_smallILi256E19rocblas_complex_numIdEidPKPS3_EEvT1_T3_llPT2_llS8_lS7_lPT0_l,comdat
.Lfunc_end7:
	.size	_ZN9rocsolver6v33100L18larfg_kernel_smallILi256E19rocblas_complex_numIdEidPKPS3_EEvT1_T3_llPT2_llS8_lS7_lPT0_l, .Lfunc_end7-_ZN9rocsolver6v33100L18larfg_kernel_smallILi256E19rocblas_complex_numIdEidPKPS3_EEvT1_T3_llPT2_llS8_lS7_lPT0_l
                                        ; -- End function
	.section	.AMDGPU.csdata,"",@progbits
; Kernel info:
; codeLenInByte = 2324
; NumSgprs: 30
; NumVgprs: 43
; ScratchSize: 0
; MemoryBound: 0
; FloatMode: 240
; IeeeMode: 1
; LDSByteSize: 128 bytes/workgroup (compile time only)
; SGPRBlocks: 3
; VGPRBlocks: 5
; NumSGPRsForWavesPerEU: 30
; NumVGPRsForWavesPerEU: 43
; Occupancy: 16
; WaveLimiterHint : 1
; COMPUTE_PGM_RSRC2:SCRATCH_EN: 0
; COMPUTE_PGM_RSRC2:USER_SGPR: 14
; COMPUTE_PGM_RSRC2:TRAP_HANDLER: 0
; COMPUTE_PGM_RSRC2:TGID_X_EN: 1
; COMPUTE_PGM_RSRC2:TGID_Y_EN: 0
; COMPUTE_PGM_RSRC2:TGID_Z_EN: 1
; COMPUTE_PGM_RSRC2:TIDIG_COMP_CNT: 0
	.section	.text._ZN9rocsolver6v33100L18larfg_kernel_smallILi512E19rocblas_complex_numIdEidPKPS3_EEvT1_T3_llPT2_llS8_lS7_lPT0_l,"axG",@progbits,_ZN9rocsolver6v33100L18larfg_kernel_smallILi512E19rocblas_complex_numIdEidPKPS3_EEvT1_T3_llPT2_llS8_lS7_lPT0_l,comdat
	.globl	_ZN9rocsolver6v33100L18larfg_kernel_smallILi512E19rocblas_complex_numIdEidPKPS3_EEvT1_T3_llPT2_llS8_lS7_lPT0_l ; -- Begin function _ZN9rocsolver6v33100L18larfg_kernel_smallILi512E19rocblas_complex_numIdEidPKPS3_EEvT1_T3_llPT2_llS8_lS7_lPT0_l
	.p2align	8
	.type	_ZN9rocsolver6v33100L18larfg_kernel_smallILi512E19rocblas_complex_numIdEidPKPS3_EEvT1_T3_llPT2_llS8_lS7_lPT0_l,@function
_ZN9rocsolver6v33100L18larfg_kernel_smallILi512E19rocblas_complex_numIdEidPKPS3_EEvT1_T3_llPT2_llS8_lS7_lPT0_l: ; @_ZN9rocsolver6v33100L18larfg_kernel_smallILi512E19rocblas_complex_numIdEidPKPS3_EEvT1_T3_llPT2_llS8_lS7_lPT0_l
; %bb.0:
	s_mov_b32 s16, s15
	s_clause 0x1
	s_load_b128 s[12:15], s[0:1], 0x8
	s_load_b256 s[4:11], s[0:1], 0x20
	s_ashr_i32 s17, s16, 31
	s_delay_alu instid0(SALU_CYCLE_1)
	s_lshl_b64 s[18:19], s[16:17], 3
	s_waitcnt lgkmcnt(0)
	s_add_u32 s2, s12, s18
	s_addc_u32 s3, s13, s19
	s_add_u32 s10, s10, s18
	s_addc_u32 s11, s11, s19
	s_load_b64 s[18:19], s[0:1], 0x40
	s_load_b64 s[12:13], s[10:11], 0x0
	s_cmp_eq_u64 s[4:5], 0
	s_mov_b64 s[10:11], 0
	s_cbranch_scc1 .LBB8_2
; %bb.1:
	s_mul_i32 s9, s16, s9
	s_mul_hi_u32 s10, s16, s8
	s_delay_alu instid0(SALU_CYCLE_1) | instskip(SKIP_3) | instid1(SALU_CYCLE_1)
	s_add_i32 s9, s10, s9
	s_mul_i32 s10, s17, s8
	s_mul_i32 s8, s16, s8
	s_add_i32 s9, s9, s10
	s_lshl_b64 s[8:9], s[8:9], 3
	s_delay_alu instid0(SALU_CYCLE_1) | instskip(SKIP_2) | instid1(SALU_CYCLE_1)
	s_add_u32 s8, s4, s8
	s_addc_u32 s9, s5, s9
	s_lshl_b64 s[4:5], s[6:7], 3
	s_add_u32 s10, s8, s4
	s_addc_u32 s11, s9, s5
.LBB8_2:
	s_clause 0x1
	s_load_b32 s6, s[0:1], 0x0
	s_load_b32 s20, s[0:1], 0x48
	s_load_b64 s[4:5], s[2:3], 0x0
	v_mov_b32_e32 v1, 0
	s_waitcnt lgkmcnt(0)
	s_lshl_b64 s[2:3], s[18:19], 4
	v_mov_b32_e32 v2, 0
	s_add_u32 s12, s12, s2
	s_addc_u32 s13, s13, s3
	s_delay_alu instid0(VALU_DEP_1) | instskip(SKIP_3) | instid1(VALU_DEP_1)
	v_dual_mov_b32 v4, v2 :: v_dual_mov_b32 v3, v1
	s_add_i32 s18, s6, -1
	v_mul_lo_u32 v5, v0, s20
	v_cmp_gt_i32_e64 s2, s18, v0
	s_and_saveexec_b32 s3, s2
	s_cbranch_execz .LBB8_6
; %bb.3:
	v_dual_mov_b32 v1, 0 :: v_dual_mov_b32 v8, v0
	v_mov_b32_e32 v2, 0
	v_mul_lo_u32 v6, v0, s20
	s_lshl_b32 s7, s20, 9
	s_mov_b32 s6, 0
	s_delay_alu instid0(VALU_DEP_2)
	v_dual_mov_b32 v4, v2 :: v_dual_mov_b32 v3, v1
	.p2align	6
.LBB8_4:                                ; =>This Inner Loop Header: Depth=1
	s_delay_alu instid0(VALU_DEP_2) | instskip(SKIP_1) | instid1(VALU_DEP_2)
	v_ashrrev_i32_e32 v7, 31, v6
	v_add_nc_u32_e32 v8, 0x200, v8
	v_lshlrev_b64 v[9:10], 4, v[6:7]
	v_add_nc_u32_e32 v6, s7, v6
	s_delay_alu instid0(VALU_DEP_2) | instskip(NEXT) | instid1(VALU_DEP_3)
	v_add_co_u32 v9, vcc_lo, s12, v9
	v_add_co_ci_u32_e32 v10, vcc_lo, s13, v10, vcc_lo
	v_cmp_le_i32_e32 vcc_lo, s18, v8
	global_load_b128 v[9:12], v[9:10], off
	s_or_b32 s6, vcc_lo, s6
	s_waitcnt vmcnt(0)
	v_mul_f64 v[13:14], v[11:12], v[11:12]
	v_mul_f64 v[15:16], v[9:10], v[11:12]
	s_delay_alu instid0(VALU_DEP_2) | instskip(NEXT) | instid1(VALU_DEP_2)
	v_fma_f64 v[13:14], v[9:10], v[9:10], v[13:14]
	v_fma_f64 v[9:10], v[9:10], v[11:12], -v[15:16]
	s_delay_alu instid0(VALU_DEP_2) | instskip(NEXT) | instid1(VALU_DEP_2)
	v_add_f64 v[3:4], v[3:4], v[13:14]
	v_add_f64 v[1:2], v[1:2], v[9:10]
	s_and_not1_b32 exec_lo, exec_lo, s6
	s_cbranch_execnz .LBB8_4
; %bb.5:
	s_or_b32 exec_lo, exec_lo, s6
.LBB8_6:
	s_delay_alu instid0(SALU_CYCLE_1) | instskip(SKIP_2) | instid1(VALU_DEP_1)
	s_or_b32 exec_lo, exec_lo, s3
	v_mbcnt_lo_u32_b32 v10, -1, 0
	s_mov_b32 s3, exec_lo
	v_cmp_ne_u32_e32 vcc_lo, 31, v10
	v_add_co_ci_u32_e32 v6, vcc_lo, 0, v10, vcc_lo
	v_cmp_gt_u32_e32 vcc_lo, 30, v10
	s_delay_alu instid0(VALU_DEP_2)
	v_lshlrev_b32_e32 v9, 2, v6
	ds_bpermute_b32 v6, v9, v3
	ds_bpermute_b32 v7, v9, v4
	ds_bpermute_b32 v8, v9, v1
	ds_bpermute_b32 v9, v9, v2
	s_waitcnt lgkmcnt(2)
	v_add_f64 v[3:4], v[3:4], v[6:7]
	v_cndmask_b32_e64 v6, 0, 1, vcc_lo
	s_waitcnt lgkmcnt(0)
	v_add_f64 v[1:2], v[1:2], v[8:9]
	v_cmp_gt_u32_e32 vcc_lo, 28, v10
	s_delay_alu instid0(VALU_DEP_3) | instskip(NEXT) | instid1(VALU_DEP_1)
	v_lshlrev_b32_e32 v6, 1, v6
	v_add_lshl_u32 v9, v6, v10, 2
	ds_bpermute_b32 v6, v9, v3
	ds_bpermute_b32 v7, v9, v4
	ds_bpermute_b32 v8, v9, v1
	ds_bpermute_b32 v9, v9, v2
	s_waitcnt lgkmcnt(2)
	v_add_f64 v[3:4], v[3:4], v[6:7]
	v_cndmask_b32_e64 v6, 0, 1, vcc_lo
	s_waitcnt lgkmcnt(0)
	v_add_f64 v[1:2], v[1:2], v[8:9]
	v_cmp_gt_u32_e32 vcc_lo, 24, v10
	s_delay_alu instid0(VALU_DEP_3) | instskip(NEXT) | instid1(VALU_DEP_1)
	v_lshlrev_b32_e32 v6, 2, v6
	v_add_lshl_u32 v9, v6, v10, 2
	;; [unrolled: 13-line block ×3, first 2 shown]
	ds_bpermute_b32 v6, v9, v3
	ds_bpermute_b32 v7, v9, v4
	;; [unrolled: 1-line block ×4, first 2 shown]
	s_waitcnt lgkmcnt(2)
	v_add_f64 v[3:4], v[3:4], v[6:7]
	s_waitcnt lgkmcnt(0)
	v_add_f64 v[6:7], v[1:2], v[8:9]
	v_cndmask_b32_e64 v1, 0, 1, vcc_lo
	s_delay_alu instid0(VALU_DEP_1) | instskip(NEXT) | instid1(VALU_DEP_1)
	v_lshlrev_b32_e32 v1, 4, v1
	v_add_lshl_u32 v9, v1, v10, 2
	ds_bpermute_b32 v1, v9, v3
	ds_bpermute_b32 v2, v9, v4
	;; [unrolled: 1-line block ×4, first 2 shown]
	s_waitcnt lgkmcnt(2)
	v_add_f64 v[1:2], v[3:4], v[1:2]
	s_waitcnt lgkmcnt(0)
	v_add_f64 v[3:4], v[6:7], v[8:9]
	v_and_b32_e32 v6, 31, v0
	s_delay_alu instid0(VALU_DEP_1)
	v_cmpx_eq_u32_e32 0, v6
	s_cbranch_execz .LBB8_8
; %bb.7:
	v_lshrrev_b32_e32 v6, 1, v0
	ds_store_b128 v6, v[1:4]
.LBB8_8:
	s_or_b32 exec_lo, exec_lo, s3
	v_cmp_eq_u32_e32 vcc_lo, 0, v0
	s_waitcnt lgkmcnt(0)
	s_barrier
	buffer_gl0_inv
	s_and_saveexec_b32 s3, vcc_lo
	s_cbranch_execz .LBB8_10
; %bb.9:
	v_mov_b32_e32 v14, 0
	ds_load_b128 v[6:9], v14 offset:16
	ds_load_b128 v[10:13], v14 offset:32
	s_waitcnt lgkmcnt(1)
	v_add_f64 v[1:2], v[1:2], v[6:7]
	v_add_f64 v[3:4], v[3:4], v[8:9]
	s_waitcnt lgkmcnt(0)
	s_delay_alu instid0(VALU_DEP_2) | instskip(NEXT) | instid1(VALU_DEP_2)
	v_add_f64 v[10:11], v[1:2], v[10:11]
	v_add_f64 v[12:13], v[3:4], v[12:13]
	ds_load_b128 v[1:4], v14 offset:48
	ds_load_b128 v[6:9], v14 offset:64
	s_waitcnt lgkmcnt(1)
	v_add_f64 v[1:2], v[10:11], v[1:2]
	v_add_f64 v[3:4], v[12:13], v[3:4]
	s_waitcnt lgkmcnt(0)
	s_delay_alu instid0(VALU_DEP_2) | instskip(NEXT) | instid1(VALU_DEP_2)
	v_add_f64 v[10:11], v[1:2], v[6:7]
	v_add_f64 v[12:13], v[3:4], v[8:9]
	;; [unrolled: 9-line block ×7, first 2 shown]
	ds_load_b128 v[1:4], v14 offset:240
	s_waitcnt lgkmcnt(0)
	v_add_f64 v[1:2], v[6:7], v[1:2]
	v_add_f64 v[3:4], v[8:9], v[3:4]
	ds_store_b128 v14, v[1:4]
.LBB8_10:
	s_or_b32 exec_lo, exec_lo, s3
	s_waitcnt lgkmcnt(0)
	s_barrier
	buffer_gl0_inv
	s_and_saveexec_b32 s19, vcc_lo
	s_cbranch_execz .LBB8_20
; %bb.11:
	s_lshl_b64 s[6:7], s[14:15], 4
	v_mov_b32_e32 v1, 0
	s_add_u32 s4, s4, s6
	s_addc_u32 s5, s5, s7
	s_load_b128 s[24:27], s[0:1], 0x58
	s_load_b64 s[8:9], s[4:5], 0x8
	ds_load_b64 v[8:9], v1
	s_waitcnt lgkmcnt(0)
	s_mul_i32 s0, s16, s27
	v_mul_f64 v[6:7], s[8:9], s[8:9]
	v_max_f64 v[2:3], v[8:9], v[8:9]
	s_mul_hi_u32 s1, s16, s26
	s_delay_alu instid0(SALU_CYCLE_1) | instskip(SKIP_1) | instid1(SALU_CYCLE_1)
	s_add_i32 s0, s1, s0
	s_mul_i32 s1, s17, s26
	s_add_i32 s1, s0, s1
	s_mul_i32 s0, s16, s26
	s_delay_alu instid0(SALU_CYCLE_1) | instskip(NEXT) | instid1(SALU_CYCLE_1)
	s_lshl_b64 s[0:1], s[0:1], 4
	s_add_u32 s6, s24, s0
	s_addc_u32 s7, s25, s1
	s_cmp_eq_u64 s[10:11], 0
	s_mov_b32 s0, 0
	s_cselect_b32 s14, -1, 0
	s_cmp_lg_u64 s[10:11], 0
	s_cselect_b32 s15, -1, 0
	s_delay_alu instid0(VALU_DEP_1) | instskip(NEXT) | instid1(VALU_DEP_1)
	v_max_f64 v[2:3], v[2:3], v[6:7]
	v_cmp_nlt_f64_e32 vcc_lo, 0, v[2:3]
	s_cbranch_vccz .LBB8_14
; %bb.12:
	v_dual_mov_b32 v2, 0x3ff00000 :: v_dual_mov_b32 v3, v1
	v_mov_b32_e32 v4, v1
	s_mov_b32 s3, 0
	s_and_b32 vcc_lo, exec_lo, s15
	ds_store_b128 v1, v[1:4]
	v_mov_b32_e32 v2, v1
	global_store_b128 v1, v[1:4], s[6:7]
                                        ; implicit-def: $vgpr3_vgpr4
	s_cbranch_vccz .LBB8_15
; %bb.13:
	v_mov_b32_e32 v1, 0
	s_mov_b32 s1, -1
	global_load_b64 v[1:2], v1, s[4:5]
	s_and_b32 vcc_lo, exec_lo, s3
	s_cbranch_vccnz .LBB8_16
	s_branch .LBB8_17
.LBB8_14:
	s_mov_b32 s3, -1
.LBB8_15:
	s_mov_b32 s1, 0
                                        ; implicit-def: $vgpr1_vgpr2
	s_and_b32 vcc_lo, exec_lo, s3
	s_cbranch_vccz .LBB8_17
.LBB8_16:
	v_mov_b32_e32 v42, 0
	global_load_b64 v[3:4], v42, s[4:5]
	s_waitcnt vmcnt(0)
	v_fma_f64 v[1:2], v[3:4], v[3:4], v[6:7]
	s_delay_alu instid0(VALU_DEP_1) | instskip(NEXT) | instid1(VALU_DEP_1)
	v_add_f64 v[1:2], v[8:9], v[1:2]
	v_cmp_gt_f64_e32 vcc_lo, 0x10000000, v[1:2]
	v_cndmask_b32_e64 v8, 0, 1, vcc_lo
	s_and_b32 s0, vcc_lo, exec_lo
	s_cselect_b32 s0, 0xffffff80, 0
	s_delay_alu instid0(VALU_DEP_1) | instskip(NEXT) | instid1(VALU_DEP_1)
	v_lshlrev_b32_e32 v8, 8, v8
	v_ldexp_f64 v[1:2], v[1:2], v8
	s_delay_alu instid0(VALU_DEP_1) | instskip(SKIP_4) | instid1(VALU_DEP_1)
	v_rsq_f64_e32 v[8:9], v[1:2]
	v_cmp_class_f64_e64 vcc_lo, v[1:2], 0x260
	s_waitcnt_depctr 0xfff
	v_mul_f64 v[10:11], v[1:2], v[8:9]
	v_mul_f64 v[8:9], v[8:9], 0.5
	v_fma_f64 v[12:13], -v[8:9], v[10:11], 0.5
	s_delay_alu instid0(VALU_DEP_1) | instskip(SKIP_1) | instid1(VALU_DEP_2)
	v_fma_f64 v[10:11], v[10:11], v[12:13], v[10:11]
	v_fma_f64 v[8:9], v[8:9], v[12:13], v[8:9]
	v_fma_f64 v[12:13], -v[10:11], v[10:11], v[1:2]
	s_delay_alu instid0(VALU_DEP_1) | instskip(NEXT) | instid1(VALU_DEP_1)
	v_fma_f64 v[10:11], v[12:13], v[8:9], v[10:11]
	v_fma_f64 v[12:13], -v[10:11], v[10:11], v[1:2]
	s_delay_alu instid0(VALU_DEP_1) | instskip(NEXT) | instid1(VALU_DEP_1)
	v_fma_f64 v[8:9], v[12:13], v[8:9], v[10:11]
	v_ldexp_f64 v[8:9], v[8:9], s0
	s_delay_alu instid0(VALU_DEP_1) | instskip(SKIP_1) | instid1(VALU_DEP_2)
	v_dual_cndmask_b32 v1, v8, v1 :: v_dual_cndmask_b32 v2, v9, v2
	v_cmp_le_f64_e32 vcc_lo, 0, v[3:4]
	v_xor_b32_e32 v8, 0x80000000, v2
	s_delay_alu instid0(VALU_DEP_1) | instskip(NEXT) | instid1(VALU_DEP_1)
	v_cndmask_b32_e32 v2, v2, v8, vcc_lo
	v_add_f64 v[8:9], v[3:4], -v[1:2]
	v_add_f64 v[3:4], v[1:2], -v[3:4]
	v_div_scale_f64 v[16:17], null, v[1:2], v[1:2], -s[8:9]
	s_delay_alu instid0(VALU_DEP_3) | instskip(NEXT) | instid1(VALU_DEP_3)
	v_fma_f64 v[10:11], v[8:9], v[8:9], v[6:7]
	v_div_scale_f64 v[14:15], null, v[1:2], v[1:2], v[3:4]
	s_delay_alu instid0(VALU_DEP_3) | instskip(NEXT) | instid1(VALU_DEP_2)
	v_rcp_f64_e32 v[24:25], v[16:17]
	v_div_scale_f64 v[6:7], null, v[10:11], v[10:11], v[8:9]
	v_div_scale_f64 v[12:13], null, v[10:11], v[10:11], -s[8:9]
	s_delay_alu instid0(VALU_DEP_3)
	v_rcp_f64_e32 v[22:23], v[14:15]
	s_waitcnt_depctr 0xfff
	v_fma_f64 v[32:33], -v[16:17], v[24:25], 1.0
	v_div_scale_f64 v[34:35], vcc_lo, v[8:9], v[10:11], v[8:9]
	v_rcp_f64_e32 v[18:19], v[6:7]
	v_rcp_f64_e32 v[20:21], v[12:13]
	s_delay_alu instid0(VALU_DEP_2)
	v_fma_f64 v[24:25], v[24:25], v[32:33], v[24:25]
	v_fma_f64 v[30:31], -v[14:15], v[22:23], 1.0
	s_waitcnt_depctr 0xfff
	v_fma_f64 v[26:27], -v[6:7], v[18:19], 1.0
	v_fma_f64 v[28:29], -v[12:13], v[20:21], 1.0
	v_fma_f64 v[32:33], -v[16:17], v[24:25], 1.0
	v_fma_f64 v[22:23], v[22:23], v[30:31], v[22:23]
	s_delay_alu instid0(VALU_DEP_4) | instskip(NEXT) | instid1(VALU_DEP_4)
	v_fma_f64 v[18:19], v[18:19], v[26:27], v[18:19]
	v_fma_f64 v[20:21], v[20:21], v[28:29], v[20:21]
	s_delay_alu instid0(VALU_DEP_4) | instskip(NEXT) | instid1(VALU_DEP_4)
	v_fma_f64 v[24:25], v[24:25], v[32:33], v[24:25]
	v_fma_f64 v[30:31], -v[14:15], v[22:23], 1.0
	s_delay_alu instid0(VALU_DEP_4) | instskip(NEXT) | instid1(VALU_DEP_4)
	v_fma_f64 v[26:27], -v[6:7], v[18:19], 1.0
	v_fma_f64 v[28:29], -v[12:13], v[20:21], 1.0
	s_delay_alu instid0(VALU_DEP_3) | instskip(SKIP_1) | instid1(VALU_DEP_4)
	v_fma_f64 v[22:23], v[22:23], v[30:31], v[22:23]
	v_div_scale_f64 v[30:31], s3, -s[8:9], v[1:2], -s[8:9]
	v_fma_f64 v[18:19], v[18:19], v[26:27], v[18:19]
	v_div_scale_f64 v[26:27], s0, -s[8:9], v[10:11], -s[8:9]
	v_fma_f64 v[20:21], v[20:21], v[28:29], v[20:21]
	v_div_scale_f64 v[28:29], s1, v[3:4], v[1:2], v[3:4]
	v_mul_f64 v[40:41], v[30:31], v[24:25]
	v_mul_f64 v[32:33], v[34:35], v[18:19]
	s_delay_alu instid0(VALU_DEP_4) | instskip(NEXT) | instid1(VALU_DEP_4)
	v_mul_f64 v[36:37], v[26:27], v[20:21]
	v_mul_f64 v[38:39], v[28:29], v[22:23]
	s_delay_alu instid0(VALU_DEP_4) | instskip(NEXT) | instid1(VALU_DEP_4)
	v_fma_f64 v[16:17], -v[16:17], v[40:41], v[30:31]
	v_fma_f64 v[6:7], -v[6:7], v[32:33], v[34:35]
	s_delay_alu instid0(VALU_DEP_4) | instskip(NEXT) | instid1(VALU_DEP_4)
	v_fma_f64 v[12:13], -v[12:13], v[36:37], v[26:27]
	v_fma_f64 v[14:15], -v[14:15], v[38:39], v[28:29]
	s_delay_alu instid0(VALU_DEP_3) | instskip(SKIP_2) | instid1(VALU_DEP_3)
	v_div_fmas_f64 v[6:7], v[6:7], v[18:19], v[32:33]
	s_mov_b32 vcc_lo, s0
	s_mov_b32 s0, s14
	v_div_fmas_f64 v[12:13], v[12:13], v[20:21], v[36:37]
	s_mov_b32 vcc_lo, s1
	s_mov_b32 s1, s15
	s_delay_alu instid0(VALU_DEP_3) | instskip(SKIP_2) | instid1(VALU_DEP_4)
	v_div_fmas_f64 v[14:15], v[14:15], v[22:23], v[38:39]
	s_mov_b32 vcc_lo, s3
	v_div_fmas_f64 v[16:17], v[16:17], v[24:25], v[40:41]
	v_div_fixup_f64 v[6:7], v[6:7], v[10:11], v[8:9]
	s_delay_alu instid0(VALU_DEP_4) | instskip(NEXT) | instid1(VALU_DEP_4)
	v_div_fixup_f64 v[8:9], v[12:13], v[10:11], -s[8:9]
	v_div_fixup_f64 v[10:11], v[14:15], v[1:2], v[3:4]
	s_delay_alu instid0(VALU_DEP_4)
	v_div_fixup_f64 v[12:13], v[16:17], v[1:2], -s[8:9]
	ds_store_b128 v42, v[6:9]
	global_store_b128 v42, v[10:13], s[6:7]
.LBB8_17:
	s_and_not1_b32 vcc_lo, exec_lo, s1
	s_cbranch_vccz .LBB8_24
; %bb.18:
	s_and_not1_b32 vcc_lo, exec_lo, s0
	s_cbranch_vccnz .LBB8_20
.LBB8_19:
	v_mov_b32_e32 v3, 0
	s_delay_alu instid0(VALU_DEP_1)
	v_mov_b32_e32 v4, v3
	s_waitcnt vmcnt(0)
	global_store_b128 v3, v[1:4], s[4:5]
.LBB8_20:
	s_or_b32 exec_lo, exec_lo, s19
	s_waitcnt vmcnt(0) lgkmcnt(0)
	s_waitcnt_vscnt null, 0x0
	s_barrier
	buffer_gl0_inv
	s_and_saveexec_b32 s0, s2
	s_cbranch_execz .LBB8_23
; %bb.21:
	v_mov_b32_e32 v1, 0
	s_lshl_b32 s0, s20, 9
	s_mov_b32 s1, 0
	ds_load_b128 v[1:4], v1
	.p2align	6
.LBB8_22:                               ; =>This Inner Loop Header: Depth=1
	v_ashrrev_i32_e32 v6, 31, v5
	v_add_nc_u32_e32 v0, 0x200, v0
	s_delay_alu instid0(VALU_DEP_2) | instskip(SKIP_1) | instid1(VALU_DEP_2)
	v_lshlrev_b64 v[6:7], 4, v[5:6]
	v_add_nc_u32_e32 v5, s0, v5
	v_add_co_u32 v12, vcc_lo, s12, v6
	s_delay_alu instid0(VALU_DEP_3)
	v_add_co_ci_u32_e32 v13, vcc_lo, s13, v7, vcc_lo
	v_cmp_le_i32_e32 vcc_lo, s18, v0
	global_load_b128 v[6:9], v[12:13], off
	s_or_b32 s1, vcc_lo, s1
	s_waitcnt vmcnt(0) lgkmcnt(0)
	v_mul_f64 v[10:11], v[3:4], v[8:9]
	v_mul_f64 v[14:15], v[1:2], v[8:9]
	s_delay_alu instid0(VALU_DEP_2) | instskip(NEXT) | instid1(VALU_DEP_2)
	v_fma_f64 v[8:9], v[1:2], v[6:7], -v[10:11]
	v_fma_f64 v[10:11], v[3:4], v[6:7], v[14:15]
	global_store_b128 v[12:13], v[8:11], off
	s_and_not1_b32 exec_lo, exec_lo, s1
	s_cbranch_execnz .LBB8_22
.LBB8_23:
	s_nop 0
	s_sendmsg sendmsg(MSG_DEALLOC_VGPRS)
	s_endpgm
.LBB8_24:
	v_dual_mov_b32 v3, s10 :: v_dual_mov_b32 v4, s11
	s_waitcnt vmcnt(0)
	flat_store_b64 v[3:4], v[1:2]
	v_mov_b32_e32 v1, 0
	v_mov_b32_e32 v2, 0x3ff00000
	s_branch .LBB8_19
	.section	.rodata,"a",@progbits
	.p2align	6, 0x0
	.amdhsa_kernel _ZN9rocsolver6v33100L18larfg_kernel_smallILi512E19rocblas_complex_numIdEidPKPS3_EEvT1_T3_llPT2_llS8_lS7_lPT0_l
		.amdhsa_group_segment_fixed_size 256
		.amdhsa_private_segment_fixed_size 0
		.amdhsa_kernarg_size 104
		.amdhsa_user_sgpr_count 14
		.amdhsa_user_sgpr_dispatch_ptr 0
		.amdhsa_user_sgpr_queue_ptr 0
		.amdhsa_user_sgpr_kernarg_segment_ptr 1
		.amdhsa_user_sgpr_dispatch_id 0
		.amdhsa_user_sgpr_private_segment_size 0
		.amdhsa_wavefront_size32 1
		.amdhsa_uses_dynamic_stack 0
		.amdhsa_enable_private_segment 0
		.amdhsa_system_sgpr_workgroup_id_x 1
		.amdhsa_system_sgpr_workgroup_id_y 0
		.amdhsa_system_sgpr_workgroup_id_z 1
		.amdhsa_system_sgpr_workgroup_info 0
		.amdhsa_system_vgpr_workitem_id 0
		.amdhsa_next_free_vgpr 43
		.amdhsa_next_free_sgpr 28
		.amdhsa_reserve_vcc 1
		.amdhsa_float_round_mode_32 0
		.amdhsa_float_round_mode_16_64 0
		.amdhsa_float_denorm_mode_32 3
		.amdhsa_float_denorm_mode_16_64 3
		.amdhsa_dx10_clamp 1
		.amdhsa_ieee_mode 1
		.amdhsa_fp16_overflow 0
		.amdhsa_workgroup_processor_mode 1
		.amdhsa_memory_ordered 1
		.amdhsa_forward_progress 0
		.amdhsa_shared_vgpr_count 0
		.amdhsa_exception_fp_ieee_invalid_op 0
		.amdhsa_exception_fp_denorm_src 0
		.amdhsa_exception_fp_ieee_div_zero 0
		.amdhsa_exception_fp_ieee_overflow 0
		.amdhsa_exception_fp_ieee_underflow 0
		.amdhsa_exception_fp_ieee_inexact 0
		.amdhsa_exception_int_div_zero 0
	.end_amdhsa_kernel
	.section	.text._ZN9rocsolver6v33100L18larfg_kernel_smallILi512E19rocblas_complex_numIdEidPKPS3_EEvT1_T3_llPT2_llS8_lS7_lPT0_l,"axG",@progbits,_ZN9rocsolver6v33100L18larfg_kernel_smallILi512E19rocblas_complex_numIdEidPKPS3_EEvT1_T3_llPT2_llS8_lS7_lPT0_l,comdat
.Lfunc_end8:
	.size	_ZN9rocsolver6v33100L18larfg_kernel_smallILi512E19rocblas_complex_numIdEidPKPS3_EEvT1_T3_llPT2_llS8_lS7_lPT0_l, .Lfunc_end8-_ZN9rocsolver6v33100L18larfg_kernel_smallILi512E19rocblas_complex_numIdEidPKPS3_EEvT1_T3_llPT2_llS8_lS7_lPT0_l
                                        ; -- End function
	.section	.AMDGPU.csdata,"",@progbits
; Kernel info:
; codeLenInByte = 2564
; NumSgprs: 30
; NumVgprs: 43
; ScratchSize: 0
; MemoryBound: 0
; FloatMode: 240
; IeeeMode: 1
; LDSByteSize: 256 bytes/workgroup (compile time only)
; SGPRBlocks: 3
; VGPRBlocks: 5
; NumSGPRsForWavesPerEU: 30
; NumVGPRsForWavesPerEU: 43
; Occupancy: 16
; WaveLimiterHint : 1
; COMPUTE_PGM_RSRC2:SCRATCH_EN: 0
; COMPUTE_PGM_RSRC2:USER_SGPR: 14
; COMPUTE_PGM_RSRC2:TRAP_HANDLER: 0
; COMPUTE_PGM_RSRC2:TGID_X_EN: 1
; COMPUTE_PGM_RSRC2:TGID_Y_EN: 0
; COMPUTE_PGM_RSRC2:TGID_Z_EN: 1
; COMPUTE_PGM_RSRC2:TIDIG_COMP_CNT: 0
	.section	.text._ZN9rocsolver6v33100L18larfg_kernel_smallILi1024E19rocblas_complex_numIdEidPKPS3_EEvT1_T3_llPT2_llS8_lS7_lPT0_l,"axG",@progbits,_ZN9rocsolver6v33100L18larfg_kernel_smallILi1024E19rocblas_complex_numIdEidPKPS3_EEvT1_T3_llPT2_llS8_lS7_lPT0_l,comdat
	.globl	_ZN9rocsolver6v33100L18larfg_kernel_smallILi1024E19rocblas_complex_numIdEidPKPS3_EEvT1_T3_llPT2_llS8_lS7_lPT0_l ; -- Begin function _ZN9rocsolver6v33100L18larfg_kernel_smallILi1024E19rocblas_complex_numIdEidPKPS3_EEvT1_T3_llPT2_llS8_lS7_lPT0_l
	.p2align	8
	.type	_ZN9rocsolver6v33100L18larfg_kernel_smallILi1024E19rocblas_complex_numIdEidPKPS3_EEvT1_T3_llPT2_llS8_lS7_lPT0_l,@function
_ZN9rocsolver6v33100L18larfg_kernel_smallILi1024E19rocblas_complex_numIdEidPKPS3_EEvT1_T3_llPT2_llS8_lS7_lPT0_l: ; @_ZN9rocsolver6v33100L18larfg_kernel_smallILi1024E19rocblas_complex_numIdEidPKPS3_EEvT1_T3_llPT2_llS8_lS7_lPT0_l
; %bb.0:
	s_mov_b32 s16, s15
	s_clause 0x1
	s_load_b128 s[12:15], s[0:1], 0x8
	s_load_b256 s[4:11], s[0:1], 0x20
	s_ashr_i32 s17, s16, 31
	s_delay_alu instid0(SALU_CYCLE_1)
	s_lshl_b64 s[18:19], s[16:17], 3
	s_waitcnt lgkmcnt(0)
	s_add_u32 s2, s12, s18
	s_addc_u32 s3, s13, s19
	s_add_u32 s10, s10, s18
	s_addc_u32 s11, s11, s19
	s_load_b64 s[18:19], s[0:1], 0x40
	s_load_b64 s[12:13], s[10:11], 0x0
	s_cmp_eq_u64 s[4:5], 0
	s_mov_b64 s[10:11], 0
	s_cbranch_scc1 .LBB9_2
; %bb.1:
	s_mul_i32 s9, s16, s9
	s_mul_hi_u32 s10, s16, s8
	s_delay_alu instid0(SALU_CYCLE_1) | instskip(SKIP_3) | instid1(SALU_CYCLE_1)
	s_add_i32 s9, s10, s9
	s_mul_i32 s10, s17, s8
	s_mul_i32 s8, s16, s8
	s_add_i32 s9, s9, s10
	s_lshl_b64 s[8:9], s[8:9], 3
	s_delay_alu instid0(SALU_CYCLE_1) | instskip(SKIP_2) | instid1(SALU_CYCLE_1)
	s_add_u32 s8, s4, s8
	s_addc_u32 s9, s5, s9
	s_lshl_b64 s[4:5], s[6:7], 3
	s_add_u32 s10, s8, s4
	s_addc_u32 s11, s9, s5
.LBB9_2:
	s_clause 0x1
	s_load_b32 s6, s[0:1], 0x0
	s_load_b32 s20, s[0:1], 0x48
	s_load_b64 s[4:5], s[2:3], 0x0
	v_mov_b32_e32 v1, 0
	s_waitcnt lgkmcnt(0)
	s_lshl_b64 s[2:3], s[18:19], 4
	v_mov_b32_e32 v2, 0
	s_add_u32 s12, s12, s2
	s_addc_u32 s13, s13, s3
	s_delay_alu instid0(VALU_DEP_1) | instskip(SKIP_3) | instid1(VALU_DEP_1)
	v_dual_mov_b32 v4, v2 :: v_dual_mov_b32 v3, v1
	s_add_i32 s18, s6, -1
	v_mul_lo_u32 v5, v0, s20
	v_cmp_gt_i32_e64 s2, s18, v0
	s_and_saveexec_b32 s3, s2
	s_cbranch_execz .LBB9_6
; %bb.3:
	v_dual_mov_b32 v1, 0 :: v_dual_mov_b32 v8, v0
	v_mov_b32_e32 v2, 0
	v_mul_lo_u32 v6, v0, s20
	s_lshl_b32 s7, s20, 10
	s_mov_b32 s6, 0
	s_delay_alu instid0(VALU_DEP_2)
	v_dual_mov_b32 v4, v2 :: v_dual_mov_b32 v3, v1
	.p2align	6
.LBB9_4:                                ; =>This Inner Loop Header: Depth=1
	s_delay_alu instid0(VALU_DEP_2) | instskip(SKIP_1) | instid1(VALU_DEP_2)
	v_ashrrev_i32_e32 v7, 31, v6
	v_add_nc_u32_e32 v8, 0x400, v8
	v_lshlrev_b64 v[9:10], 4, v[6:7]
	v_add_nc_u32_e32 v6, s7, v6
	s_delay_alu instid0(VALU_DEP_2) | instskip(NEXT) | instid1(VALU_DEP_3)
	v_add_co_u32 v9, vcc_lo, s12, v9
	v_add_co_ci_u32_e32 v10, vcc_lo, s13, v10, vcc_lo
	v_cmp_le_i32_e32 vcc_lo, s18, v8
	global_load_b128 v[9:12], v[9:10], off
	s_or_b32 s6, vcc_lo, s6
	s_waitcnt vmcnt(0)
	v_mul_f64 v[13:14], v[11:12], v[11:12]
	v_mul_f64 v[15:16], v[9:10], v[11:12]
	s_delay_alu instid0(VALU_DEP_2) | instskip(NEXT) | instid1(VALU_DEP_2)
	v_fma_f64 v[13:14], v[9:10], v[9:10], v[13:14]
	v_fma_f64 v[9:10], v[9:10], v[11:12], -v[15:16]
	s_delay_alu instid0(VALU_DEP_2) | instskip(NEXT) | instid1(VALU_DEP_2)
	v_add_f64 v[3:4], v[3:4], v[13:14]
	v_add_f64 v[1:2], v[1:2], v[9:10]
	s_and_not1_b32 exec_lo, exec_lo, s6
	s_cbranch_execnz .LBB9_4
; %bb.5:
	s_or_b32 exec_lo, exec_lo, s6
.LBB9_6:
	s_delay_alu instid0(SALU_CYCLE_1) | instskip(SKIP_2) | instid1(VALU_DEP_1)
	s_or_b32 exec_lo, exec_lo, s3
	v_mbcnt_lo_u32_b32 v10, -1, 0
	s_mov_b32 s3, exec_lo
	v_cmp_ne_u32_e32 vcc_lo, 31, v10
	v_add_co_ci_u32_e32 v6, vcc_lo, 0, v10, vcc_lo
	v_cmp_gt_u32_e32 vcc_lo, 30, v10
	s_delay_alu instid0(VALU_DEP_2)
	v_lshlrev_b32_e32 v9, 2, v6
	ds_bpermute_b32 v6, v9, v3
	ds_bpermute_b32 v7, v9, v4
	ds_bpermute_b32 v8, v9, v1
	ds_bpermute_b32 v9, v9, v2
	s_waitcnt lgkmcnt(2)
	v_add_f64 v[3:4], v[3:4], v[6:7]
	v_cndmask_b32_e64 v6, 0, 1, vcc_lo
	s_waitcnt lgkmcnt(0)
	v_add_f64 v[1:2], v[1:2], v[8:9]
	v_cmp_gt_u32_e32 vcc_lo, 28, v10
	s_delay_alu instid0(VALU_DEP_3) | instskip(NEXT) | instid1(VALU_DEP_1)
	v_lshlrev_b32_e32 v6, 1, v6
	v_add_lshl_u32 v9, v6, v10, 2
	ds_bpermute_b32 v6, v9, v3
	ds_bpermute_b32 v7, v9, v4
	ds_bpermute_b32 v8, v9, v1
	ds_bpermute_b32 v9, v9, v2
	s_waitcnt lgkmcnt(2)
	v_add_f64 v[3:4], v[3:4], v[6:7]
	v_cndmask_b32_e64 v6, 0, 1, vcc_lo
	s_waitcnt lgkmcnt(0)
	v_add_f64 v[1:2], v[1:2], v[8:9]
	v_cmp_gt_u32_e32 vcc_lo, 24, v10
	s_delay_alu instid0(VALU_DEP_3) | instskip(NEXT) | instid1(VALU_DEP_1)
	v_lshlrev_b32_e32 v6, 2, v6
	v_add_lshl_u32 v9, v6, v10, 2
	;; [unrolled: 13-line block ×3, first 2 shown]
	ds_bpermute_b32 v6, v9, v3
	ds_bpermute_b32 v7, v9, v4
	;; [unrolled: 1-line block ×4, first 2 shown]
	s_waitcnt lgkmcnt(2)
	v_add_f64 v[3:4], v[3:4], v[6:7]
	s_waitcnt lgkmcnt(0)
	v_add_f64 v[6:7], v[1:2], v[8:9]
	v_cndmask_b32_e64 v1, 0, 1, vcc_lo
	s_delay_alu instid0(VALU_DEP_1) | instskip(NEXT) | instid1(VALU_DEP_1)
	v_lshlrev_b32_e32 v1, 4, v1
	v_add_lshl_u32 v9, v1, v10, 2
	ds_bpermute_b32 v1, v9, v3
	ds_bpermute_b32 v2, v9, v4
	;; [unrolled: 1-line block ×4, first 2 shown]
	s_waitcnt lgkmcnt(2)
	v_add_f64 v[1:2], v[3:4], v[1:2]
	s_waitcnt lgkmcnt(0)
	v_add_f64 v[3:4], v[6:7], v[8:9]
	v_and_b32_e32 v6, 31, v0
	s_delay_alu instid0(VALU_DEP_1)
	v_cmpx_eq_u32_e32 0, v6
	s_cbranch_execz .LBB9_8
; %bb.7:
	v_lshrrev_b32_e32 v6, 1, v0
	ds_store_b128 v6, v[1:4]
.LBB9_8:
	s_or_b32 exec_lo, exec_lo, s3
	v_cmp_eq_u32_e32 vcc_lo, 0, v0
	s_waitcnt lgkmcnt(0)
	s_barrier
	buffer_gl0_inv
	s_and_saveexec_b32 s3, vcc_lo
	s_cbranch_execz .LBB9_10
; %bb.9:
	v_mov_b32_e32 v14, 0
	ds_load_b128 v[6:9], v14 offset:16
	ds_load_b128 v[10:13], v14 offset:32
	s_waitcnt lgkmcnt(1)
	v_add_f64 v[1:2], v[1:2], v[6:7]
	v_add_f64 v[3:4], v[3:4], v[8:9]
	s_waitcnt lgkmcnt(0)
	s_delay_alu instid0(VALU_DEP_2) | instskip(NEXT) | instid1(VALU_DEP_2)
	v_add_f64 v[10:11], v[1:2], v[10:11]
	v_add_f64 v[12:13], v[3:4], v[12:13]
	ds_load_b128 v[1:4], v14 offset:48
	ds_load_b128 v[6:9], v14 offset:64
	s_waitcnt lgkmcnt(1)
	v_add_f64 v[1:2], v[10:11], v[1:2]
	v_add_f64 v[3:4], v[12:13], v[3:4]
	s_waitcnt lgkmcnt(0)
	s_delay_alu instid0(VALU_DEP_2) | instskip(NEXT) | instid1(VALU_DEP_2)
	v_add_f64 v[10:11], v[1:2], v[6:7]
	v_add_f64 v[12:13], v[3:4], v[8:9]
	;; [unrolled: 9-line block ×15, first 2 shown]
	ds_load_b128 v[1:4], v14 offset:496
	s_waitcnt lgkmcnt(0)
	v_add_f64 v[1:2], v[6:7], v[1:2]
	v_add_f64 v[3:4], v[8:9], v[3:4]
	ds_store_b128 v14, v[1:4]
.LBB9_10:
	s_or_b32 exec_lo, exec_lo, s3
	s_waitcnt lgkmcnt(0)
	s_barrier
	buffer_gl0_inv
	s_and_saveexec_b32 s19, vcc_lo
	s_cbranch_execz .LBB9_20
; %bb.11:
	s_lshl_b64 s[6:7], s[14:15], 4
	v_mov_b32_e32 v1, 0
	s_add_u32 s4, s4, s6
	s_addc_u32 s5, s5, s7
	s_load_b128 s[24:27], s[0:1], 0x58
	s_load_b64 s[8:9], s[4:5], 0x8
	ds_load_b64 v[8:9], v1
	s_waitcnt lgkmcnt(0)
	s_mul_i32 s0, s16, s27
	v_mul_f64 v[6:7], s[8:9], s[8:9]
	v_max_f64 v[2:3], v[8:9], v[8:9]
	s_mul_hi_u32 s1, s16, s26
	s_delay_alu instid0(SALU_CYCLE_1) | instskip(SKIP_1) | instid1(SALU_CYCLE_1)
	s_add_i32 s0, s1, s0
	s_mul_i32 s1, s17, s26
	s_add_i32 s1, s0, s1
	s_mul_i32 s0, s16, s26
	s_delay_alu instid0(SALU_CYCLE_1) | instskip(NEXT) | instid1(SALU_CYCLE_1)
	s_lshl_b64 s[0:1], s[0:1], 4
	s_add_u32 s6, s24, s0
	s_addc_u32 s7, s25, s1
	s_cmp_eq_u64 s[10:11], 0
	s_mov_b32 s0, 0
	s_cselect_b32 s14, -1, 0
	s_cmp_lg_u64 s[10:11], 0
	s_cselect_b32 s15, -1, 0
	s_delay_alu instid0(VALU_DEP_1) | instskip(NEXT) | instid1(VALU_DEP_1)
	v_max_f64 v[2:3], v[2:3], v[6:7]
	v_cmp_nlt_f64_e32 vcc_lo, 0, v[2:3]
	s_cbranch_vccz .LBB9_14
; %bb.12:
	v_dual_mov_b32 v2, 0x3ff00000 :: v_dual_mov_b32 v3, v1
	v_mov_b32_e32 v4, v1
	s_mov_b32 s3, 0
	s_and_b32 vcc_lo, exec_lo, s15
	ds_store_b128 v1, v[1:4]
	v_mov_b32_e32 v2, v1
	global_store_b128 v1, v[1:4], s[6:7]
                                        ; implicit-def: $vgpr3_vgpr4
	s_cbranch_vccz .LBB9_15
; %bb.13:
	v_mov_b32_e32 v1, 0
	s_mov_b32 s1, -1
	global_load_b64 v[1:2], v1, s[4:5]
	s_and_b32 vcc_lo, exec_lo, s3
	s_cbranch_vccnz .LBB9_16
	s_branch .LBB9_17
.LBB9_14:
	s_mov_b32 s3, -1
.LBB9_15:
	s_mov_b32 s1, 0
                                        ; implicit-def: $vgpr1_vgpr2
	s_and_b32 vcc_lo, exec_lo, s3
	s_cbranch_vccz .LBB9_17
.LBB9_16:
	v_mov_b32_e32 v42, 0
	global_load_b64 v[3:4], v42, s[4:5]
	s_waitcnt vmcnt(0)
	v_fma_f64 v[1:2], v[3:4], v[3:4], v[6:7]
	s_delay_alu instid0(VALU_DEP_1) | instskip(NEXT) | instid1(VALU_DEP_1)
	v_add_f64 v[1:2], v[8:9], v[1:2]
	v_cmp_gt_f64_e32 vcc_lo, 0x10000000, v[1:2]
	v_cndmask_b32_e64 v8, 0, 1, vcc_lo
	s_and_b32 s0, vcc_lo, exec_lo
	s_cselect_b32 s0, 0xffffff80, 0
	s_delay_alu instid0(VALU_DEP_1) | instskip(NEXT) | instid1(VALU_DEP_1)
	v_lshlrev_b32_e32 v8, 8, v8
	v_ldexp_f64 v[1:2], v[1:2], v8
	s_delay_alu instid0(VALU_DEP_1) | instskip(SKIP_4) | instid1(VALU_DEP_1)
	v_rsq_f64_e32 v[8:9], v[1:2]
	v_cmp_class_f64_e64 vcc_lo, v[1:2], 0x260
	s_waitcnt_depctr 0xfff
	v_mul_f64 v[10:11], v[1:2], v[8:9]
	v_mul_f64 v[8:9], v[8:9], 0.5
	v_fma_f64 v[12:13], -v[8:9], v[10:11], 0.5
	s_delay_alu instid0(VALU_DEP_1) | instskip(SKIP_1) | instid1(VALU_DEP_2)
	v_fma_f64 v[10:11], v[10:11], v[12:13], v[10:11]
	v_fma_f64 v[8:9], v[8:9], v[12:13], v[8:9]
	v_fma_f64 v[12:13], -v[10:11], v[10:11], v[1:2]
	s_delay_alu instid0(VALU_DEP_1) | instskip(NEXT) | instid1(VALU_DEP_1)
	v_fma_f64 v[10:11], v[12:13], v[8:9], v[10:11]
	v_fma_f64 v[12:13], -v[10:11], v[10:11], v[1:2]
	s_delay_alu instid0(VALU_DEP_1) | instskip(NEXT) | instid1(VALU_DEP_1)
	v_fma_f64 v[8:9], v[12:13], v[8:9], v[10:11]
	v_ldexp_f64 v[8:9], v[8:9], s0
	s_delay_alu instid0(VALU_DEP_1) | instskip(SKIP_1) | instid1(VALU_DEP_2)
	v_dual_cndmask_b32 v1, v8, v1 :: v_dual_cndmask_b32 v2, v9, v2
	v_cmp_le_f64_e32 vcc_lo, 0, v[3:4]
	v_xor_b32_e32 v8, 0x80000000, v2
	s_delay_alu instid0(VALU_DEP_1) | instskip(NEXT) | instid1(VALU_DEP_1)
	v_cndmask_b32_e32 v2, v2, v8, vcc_lo
	v_add_f64 v[8:9], v[3:4], -v[1:2]
	v_add_f64 v[3:4], v[1:2], -v[3:4]
	v_div_scale_f64 v[16:17], null, v[1:2], v[1:2], -s[8:9]
	s_delay_alu instid0(VALU_DEP_3) | instskip(NEXT) | instid1(VALU_DEP_3)
	v_fma_f64 v[10:11], v[8:9], v[8:9], v[6:7]
	v_div_scale_f64 v[14:15], null, v[1:2], v[1:2], v[3:4]
	s_delay_alu instid0(VALU_DEP_3) | instskip(NEXT) | instid1(VALU_DEP_2)
	v_rcp_f64_e32 v[24:25], v[16:17]
	v_div_scale_f64 v[6:7], null, v[10:11], v[10:11], v[8:9]
	v_div_scale_f64 v[12:13], null, v[10:11], v[10:11], -s[8:9]
	s_delay_alu instid0(VALU_DEP_3)
	v_rcp_f64_e32 v[22:23], v[14:15]
	s_waitcnt_depctr 0xfff
	v_fma_f64 v[32:33], -v[16:17], v[24:25], 1.0
	v_div_scale_f64 v[34:35], vcc_lo, v[8:9], v[10:11], v[8:9]
	v_rcp_f64_e32 v[18:19], v[6:7]
	v_rcp_f64_e32 v[20:21], v[12:13]
	s_delay_alu instid0(VALU_DEP_2)
	v_fma_f64 v[24:25], v[24:25], v[32:33], v[24:25]
	v_fma_f64 v[30:31], -v[14:15], v[22:23], 1.0
	s_waitcnt_depctr 0xfff
	v_fma_f64 v[26:27], -v[6:7], v[18:19], 1.0
	v_fma_f64 v[28:29], -v[12:13], v[20:21], 1.0
	;; [unrolled: 1-line block ×3, first 2 shown]
	v_fma_f64 v[22:23], v[22:23], v[30:31], v[22:23]
	s_delay_alu instid0(VALU_DEP_4) | instskip(NEXT) | instid1(VALU_DEP_4)
	v_fma_f64 v[18:19], v[18:19], v[26:27], v[18:19]
	v_fma_f64 v[20:21], v[20:21], v[28:29], v[20:21]
	s_delay_alu instid0(VALU_DEP_4) | instskip(NEXT) | instid1(VALU_DEP_4)
	v_fma_f64 v[24:25], v[24:25], v[32:33], v[24:25]
	v_fma_f64 v[30:31], -v[14:15], v[22:23], 1.0
	s_delay_alu instid0(VALU_DEP_4) | instskip(NEXT) | instid1(VALU_DEP_4)
	v_fma_f64 v[26:27], -v[6:7], v[18:19], 1.0
	v_fma_f64 v[28:29], -v[12:13], v[20:21], 1.0
	s_delay_alu instid0(VALU_DEP_3) | instskip(SKIP_1) | instid1(VALU_DEP_4)
	v_fma_f64 v[22:23], v[22:23], v[30:31], v[22:23]
	v_div_scale_f64 v[30:31], s3, -s[8:9], v[1:2], -s[8:9]
	v_fma_f64 v[18:19], v[18:19], v[26:27], v[18:19]
	v_div_scale_f64 v[26:27], s0, -s[8:9], v[10:11], -s[8:9]
	v_fma_f64 v[20:21], v[20:21], v[28:29], v[20:21]
	v_div_scale_f64 v[28:29], s1, v[3:4], v[1:2], v[3:4]
	v_mul_f64 v[40:41], v[30:31], v[24:25]
	v_mul_f64 v[32:33], v[34:35], v[18:19]
	s_delay_alu instid0(VALU_DEP_4) | instskip(NEXT) | instid1(VALU_DEP_4)
	v_mul_f64 v[36:37], v[26:27], v[20:21]
	v_mul_f64 v[38:39], v[28:29], v[22:23]
	s_delay_alu instid0(VALU_DEP_4) | instskip(NEXT) | instid1(VALU_DEP_4)
	v_fma_f64 v[16:17], -v[16:17], v[40:41], v[30:31]
	v_fma_f64 v[6:7], -v[6:7], v[32:33], v[34:35]
	s_delay_alu instid0(VALU_DEP_4) | instskip(NEXT) | instid1(VALU_DEP_4)
	v_fma_f64 v[12:13], -v[12:13], v[36:37], v[26:27]
	v_fma_f64 v[14:15], -v[14:15], v[38:39], v[28:29]
	s_delay_alu instid0(VALU_DEP_3) | instskip(SKIP_2) | instid1(VALU_DEP_3)
	v_div_fmas_f64 v[6:7], v[6:7], v[18:19], v[32:33]
	s_mov_b32 vcc_lo, s0
	s_mov_b32 s0, s14
	v_div_fmas_f64 v[12:13], v[12:13], v[20:21], v[36:37]
	s_mov_b32 vcc_lo, s1
	s_mov_b32 s1, s15
	s_delay_alu instid0(VALU_DEP_3) | instskip(SKIP_2) | instid1(VALU_DEP_4)
	v_div_fmas_f64 v[14:15], v[14:15], v[22:23], v[38:39]
	s_mov_b32 vcc_lo, s3
	v_div_fmas_f64 v[16:17], v[16:17], v[24:25], v[40:41]
	v_div_fixup_f64 v[6:7], v[6:7], v[10:11], v[8:9]
	s_delay_alu instid0(VALU_DEP_4) | instskip(NEXT) | instid1(VALU_DEP_4)
	v_div_fixup_f64 v[8:9], v[12:13], v[10:11], -s[8:9]
	v_div_fixup_f64 v[10:11], v[14:15], v[1:2], v[3:4]
	s_delay_alu instid0(VALU_DEP_4)
	v_div_fixup_f64 v[12:13], v[16:17], v[1:2], -s[8:9]
	ds_store_b128 v42, v[6:9]
	global_store_b128 v42, v[10:13], s[6:7]
.LBB9_17:
	s_and_not1_b32 vcc_lo, exec_lo, s1
	s_cbranch_vccz .LBB9_24
; %bb.18:
	s_and_not1_b32 vcc_lo, exec_lo, s0
	s_cbranch_vccnz .LBB9_20
.LBB9_19:
	v_mov_b32_e32 v3, 0
	s_delay_alu instid0(VALU_DEP_1)
	v_mov_b32_e32 v4, v3
	s_waitcnt vmcnt(0)
	global_store_b128 v3, v[1:4], s[4:5]
.LBB9_20:
	s_or_b32 exec_lo, exec_lo, s19
	s_waitcnt vmcnt(0) lgkmcnt(0)
	s_waitcnt_vscnt null, 0x0
	s_barrier
	buffer_gl0_inv
	s_and_saveexec_b32 s0, s2
	s_cbranch_execz .LBB9_23
; %bb.21:
	v_mov_b32_e32 v1, 0
	s_lshl_b32 s0, s20, 10
	s_mov_b32 s1, 0
	ds_load_b128 v[1:4], v1
	.p2align	6
.LBB9_22:                               ; =>This Inner Loop Header: Depth=1
	v_ashrrev_i32_e32 v6, 31, v5
	v_add_nc_u32_e32 v0, 0x400, v0
	s_delay_alu instid0(VALU_DEP_2) | instskip(SKIP_1) | instid1(VALU_DEP_2)
	v_lshlrev_b64 v[6:7], 4, v[5:6]
	v_add_nc_u32_e32 v5, s0, v5
	v_add_co_u32 v12, vcc_lo, s12, v6
	s_delay_alu instid0(VALU_DEP_3)
	v_add_co_ci_u32_e32 v13, vcc_lo, s13, v7, vcc_lo
	v_cmp_le_i32_e32 vcc_lo, s18, v0
	global_load_b128 v[6:9], v[12:13], off
	s_or_b32 s1, vcc_lo, s1
	s_waitcnt vmcnt(0) lgkmcnt(0)
	v_mul_f64 v[10:11], v[3:4], v[8:9]
	v_mul_f64 v[14:15], v[1:2], v[8:9]
	s_delay_alu instid0(VALU_DEP_2) | instskip(NEXT) | instid1(VALU_DEP_2)
	v_fma_f64 v[8:9], v[1:2], v[6:7], -v[10:11]
	v_fma_f64 v[10:11], v[3:4], v[6:7], v[14:15]
	global_store_b128 v[12:13], v[8:11], off
	s_and_not1_b32 exec_lo, exec_lo, s1
	s_cbranch_execnz .LBB9_22
.LBB9_23:
	s_nop 0
	s_sendmsg sendmsg(MSG_DEALLOC_VGPRS)
	s_endpgm
.LBB9_24:
	v_dual_mov_b32 v3, s10 :: v_dual_mov_b32 v4, s11
	s_waitcnt vmcnt(0)
	flat_store_b64 v[3:4], v[1:2]
	v_mov_b32_e32 v1, 0
	v_mov_b32_e32 v2, 0x3ff00000
	s_branch .LBB9_19
	.section	.rodata,"a",@progbits
	.p2align	6, 0x0
	.amdhsa_kernel _ZN9rocsolver6v33100L18larfg_kernel_smallILi1024E19rocblas_complex_numIdEidPKPS3_EEvT1_T3_llPT2_llS8_lS7_lPT0_l
		.amdhsa_group_segment_fixed_size 512
		.amdhsa_private_segment_fixed_size 0
		.amdhsa_kernarg_size 104
		.amdhsa_user_sgpr_count 14
		.amdhsa_user_sgpr_dispatch_ptr 0
		.amdhsa_user_sgpr_queue_ptr 0
		.amdhsa_user_sgpr_kernarg_segment_ptr 1
		.amdhsa_user_sgpr_dispatch_id 0
		.amdhsa_user_sgpr_private_segment_size 0
		.amdhsa_wavefront_size32 1
		.amdhsa_uses_dynamic_stack 0
		.amdhsa_enable_private_segment 0
		.amdhsa_system_sgpr_workgroup_id_x 1
		.amdhsa_system_sgpr_workgroup_id_y 0
		.amdhsa_system_sgpr_workgroup_id_z 1
		.amdhsa_system_sgpr_workgroup_info 0
		.amdhsa_system_vgpr_workitem_id 0
		.amdhsa_next_free_vgpr 43
		.amdhsa_next_free_sgpr 28
		.amdhsa_reserve_vcc 1
		.amdhsa_float_round_mode_32 0
		.amdhsa_float_round_mode_16_64 0
		.amdhsa_float_denorm_mode_32 3
		.amdhsa_float_denorm_mode_16_64 3
		.amdhsa_dx10_clamp 1
		.amdhsa_ieee_mode 1
		.amdhsa_fp16_overflow 0
		.amdhsa_workgroup_processor_mode 1
		.amdhsa_memory_ordered 1
		.amdhsa_forward_progress 0
		.amdhsa_shared_vgpr_count 0
		.amdhsa_exception_fp_ieee_invalid_op 0
		.amdhsa_exception_fp_denorm_src 0
		.amdhsa_exception_fp_ieee_div_zero 0
		.amdhsa_exception_fp_ieee_overflow 0
		.amdhsa_exception_fp_ieee_underflow 0
		.amdhsa_exception_fp_ieee_inexact 0
		.amdhsa_exception_int_div_zero 0
	.end_amdhsa_kernel
	.section	.text._ZN9rocsolver6v33100L18larfg_kernel_smallILi1024E19rocblas_complex_numIdEidPKPS3_EEvT1_T3_llPT2_llS8_lS7_lPT0_l,"axG",@progbits,_ZN9rocsolver6v33100L18larfg_kernel_smallILi1024E19rocblas_complex_numIdEidPKPS3_EEvT1_T3_llPT2_llS8_lS7_lPT0_l,comdat
.Lfunc_end9:
	.size	_ZN9rocsolver6v33100L18larfg_kernel_smallILi1024E19rocblas_complex_numIdEidPKPS3_EEvT1_T3_llPT2_llS8_lS7_lPT0_l, .Lfunc_end9-_ZN9rocsolver6v33100L18larfg_kernel_smallILi1024E19rocblas_complex_numIdEidPKPS3_EEvT1_T3_llPT2_llS8_lS7_lPT0_l
                                        ; -- End function
	.section	.AMDGPU.csdata,"",@progbits
; Kernel info:
; codeLenInByte = 3044
; NumSgprs: 30
; NumVgprs: 43
; ScratchSize: 0
; MemoryBound: 0
; FloatMode: 240
; IeeeMode: 1
; LDSByteSize: 512 bytes/workgroup (compile time only)
; SGPRBlocks: 3
; VGPRBlocks: 5
; NumSGPRsForWavesPerEU: 30
; NumVGPRsForWavesPerEU: 43
; Occupancy: 16
; WaveLimiterHint : 1
; COMPUTE_PGM_RSRC2:SCRATCH_EN: 0
; COMPUTE_PGM_RSRC2:USER_SGPR: 14
; COMPUTE_PGM_RSRC2:TRAP_HANDLER: 0
; COMPUTE_PGM_RSRC2:TGID_X_EN: 1
; COMPUTE_PGM_RSRC2:TGID_Y_EN: 0
; COMPUTE_PGM_RSRC2:TGID_Z_EN: 1
; COMPUTE_PGM_RSRC2:TIDIG_COMP_CNT: 0
	.section	.text._ZN9rocsolver6v33100L18larfg_kernel_smallILi64E19rocblas_complex_numIdEldPS3_EEvT1_T3_llPT2_llS6_lS5_lPT0_l,"axG",@progbits,_ZN9rocsolver6v33100L18larfg_kernel_smallILi64E19rocblas_complex_numIdEldPS3_EEvT1_T3_llPT2_llS6_lS5_lPT0_l,comdat
	.globl	_ZN9rocsolver6v33100L18larfg_kernel_smallILi64E19rocblas_complex_numIdEldPS3_EEvT1_T3_llPT2_llS6_lS5_lPT0_l ; -- Begin function _ZN9rocsolver6v33100L18larfg_kernel_smallILi64E19rocblas_complex_numIdEldPS3_EEvT1_T3_llPT2_llS6_lS5_lPT0_l
	.p2align	8
	.type	_ZN9rocsolver6v33100L18larfg_kernel_smallILi64E19rocblas_complex_numIdEldPS3_EEvT1_T3_llPT2_llS6_lS5_lPT0_l,@function
_ZN9rocsolver6v33100L18larfg_kernel_smallILi64E19rocblas_complex_numIdEldPS3_EEvT1_T3_llPT2_llS6_lS5_lPT0_l: ; @_ZN9rocsolver6v33100L18larfg_kernel_smallILi64E19rocblas_complex_numIdEldPS3_EEvT1_T3_llPT2_llS6_lS5_lPT0_l
; %bb.0:
	s_load_b512 s[16:31], s[0:1], 0x0
	s_mov_b64 s[34:35], 0
	s_waitcnt lgkmcnt(0)
	s_cmp_eq_u64 s[24:25], 0
	s_cbranch_scc1 .LBB10_2
; %bb.1:
	s_mul_i32 s3, s15, s29
	s_mul_hi_u32 s4, s15, s28
	s_mul_i32 s2, s15, s28
	s_add_i32 s3, s4, s3
	s_delay_alu instid0(SALU_CYCLE_1) | instskip(NEXT) | instid1(SALU_CYCLE_1)
	s_lshl_b64 s[2:3], s[2:3], 3
	s_add_u32 s4, s24, s2
	s_addc_u32 s5, s25, s3
	s_lshl_b64 s[2:3], s[26:27], 3
	s_delay_alu instid0(SALU_CYCLE_1)
	s_add_u32 s34, s4, s2
	s_addc_u32 s35, s5, s3
.LBB10_2:
	s_clause 0x1
	s_load_b256 s[4:11], s[0:1], 0x40
	s_load_b64 s[2:3], s[0:1], 0x60
	v_dual_mov_b32 v1, 0 :: v_dual_mov_b32 v2, 0
	v_mov_b32_e32 v3, 0
	s_add_u32 s12, s16, -1
	s_addc_u32 s13, s17, -1
	s_delay_alu instid0(VALU_DEP_2) | instid1(SALU_CYCLE_1)
	v_cmp_gt_i64_e64 s0, s[12:13], v[0:1]
	s_delay_alu instid0(VALU_DEP_2)
	v_dual_mov_b32 v5, v3 :: v_dual_mov_b32 v4, v2
	s_waitcnt lgkmcnt(0)
	s_mul_i32 s14, s9, s15
	s_mul_hi_u32 s24, s8, s15
	s_mul_i32 s8, s8, s15
	s_and_saveexec_b32 s25, s0
	s_cbranch_execz .LBB10_6
; %bb.3:
	v_mad_u64_u32 v[4:5], null, s6, v0, 0
	s_add_i32 s9, s24, s14
	s_lshl_b64 s[16:17], s[4:5], 4
	s_lshl_b64 s[26:27], s[8:9], 4
	s_add_u32 s1, s30, s16
	s_addc_u32 s9, s31, s17
	s_add_u32 s1, s1, s26
	s_delay_alu instid0(VALU_DEP_1) | instskip(SKIP_2) | instid1(VALU_DEP_1)
	v_mov_b32_e32 v2, v5
	s_addc_u32 s9, s9, s27
	s_lshl_b64 s[16:17], s[6:7], 10
	v_mad_u64_u32 v[5:6], null, s7, v0, v[2:3]
	v_dual_mov_b32 v2, 0 :: v_dual_mov_b32 v7, v1
	v_dual_mov_b32 v3, 0 :: v_dual_mov_b32 v6, v0
	s_delay_alu instid0(VALU_DEP_3) | instskip(NEXT) | instid1(VALU_DEP_1)
	v_lshlrev_b64 v[4:5], 4, v[4:5]
	v_add_co_u32 v8, vcc_lo, s1, v4
	s_delay_alu instid0(VALU_DEP_2) | instskip(NEXT) | instid1(VALU_DEP_4)
	v_add_co_ci_u32_e32 v9, vcc_lo, s9, v5, vcc_lo
	v_dual_mov_b32 v5, v3 :: v_dual_mov_b32 v4, v2
	s_mov_b32 s9, 0
	.p2align	6
.LBB10_4:                               ; =>This Inner Loop Header: Depth=1
	global_load_b128 v[10:13], v[8:9], off
	v_add_co_u32 v6, vcc_lo, v6, 64
	v_add_co_ci_u32_e32 v7, vcc_lo, 0, v7, vcc_lo
	v_add_co_u32 v8, s1, v8, s16
	s_delay_alu instid0(VALU_DEP_1) | instskip(NEXT) | instid1(VALU_DEP_3)
	v_add_co_ci_u32_e64 v9, s1, s17, v9, s1
	v_cmp_le_i64_e32 vcc_lo, s[12:13], v[6:7]
	s_or_b32 s9, vcc_lo, s9
	s_waitcnt vmcnt(0)
	v_mul_f64 v[14:15], v[12:13], v[12:13]
	v_mul_f64 v[16:17], v[10:11], v[12:13]
	s_delay_alu instid0(VALU_DEP_2) | instskip(NEXT) | instid1(VALU_DEP_2)
	v_fma_f64 v[14:15], v[10:11], v[10:11], v[14:15]
	v_fma_f64 v[10:11], v[10:11], v[12:13], -v[16:17]
	s_delay_alu instid0(VALU_DEP_2) | instskip(NEXT) | instid1(VALU_DEP_2)
	v_add_f64 v[4:5], v[4:5], v[14:15]
	v_add_f64 v[2:3], v[2:3], v[10:11]
	s_and_not1_b32 exec_lo, exec_lo, s9
	s_cbranch_execnz .LBB10_4
; %bb.5:
	s_or_b32 exec_lo, exec_lo, s9
.LBB10_6:
	s_delay_alu instid0(SALU_CYCLE_1) | instskip(SKIP_2) | instid1(VALU_DEP_1)
	s_or_b32 exec_lo, exec_lo, s25
	v_mbcnt_lo_u32_b32 v10, -1, 0
	s_mov_b32 s1, exec_lo
	v_cmp_ne_u32_e32 vcc_lo, 31, v10
	v_add_co_ci_u32_e32 v6, vcc_lo, 0, v10, vcc_lo
	v_cmp_gt_u32_e32 vcc_lo, 30, v10
	s_delay_alu instid0(VALU_DEP_2)
	v_lshlrev_b32_e32 v9, 2, v6
	ds_bpermute_b32 v6, v9, v4
	ds_bpermute_b32 v7, v9, v5
	ds_bpermute_b32 v8, v9, v2
	ds_bpermute_b32 v9, v9, v3
	s_waitcnt lgkmcnt(2)
	v_add_f64 v[4:5], v[4:5], v[6:7]
	v_cndmask_b32_e64 v6, 0, 1, vcc_lo
	s_waitcnt lgkmcnt(0)
	v_add_f64 v[2:3], v[2:3], v[8:9]
	v_cmp_gt_u32_e32 vcc_lo, 28, v10
	s_delay_alu instid0(VALU_DEP_3) | instskip(NEXT) | instid1(VALU_DEP_1)
	v_lshlrev_b32_e32 v6, 1, v6
	v_add_lshl_u32 v9, v6, v10, 2
	ds_bpermute_b32 v6, v9, v4
	ds_bpermute_b32 v7, v9, v5
	ds_bpermute_b32 v8, v9, v2
	ds_bpermute_b32 v9, v9, v3
	s_waitcnt lgkmcnt(2)
	v_add_f64 v[4:5], v[4:5], v[6:7]
	v_cndmask_b32_e64 v6, 0, 1, vcc_lo
	s_waitcnt lgkmcnt(0)
	v_add_f64 v[2:3], v[2:3], v[8:9]
	v_cmp_gt_u32_e32 vcc_lo, 24, v10
	s_delay_alu instid0(VALU_DEP_3) | instskip(NEXT) | instid1(VALU_DEP_1)
	v_lshlrev_b32_e32 v6, 2, v6
	v_add_lshl_u32 v9, v6, v10, 2
	;; [unrolled: 13-line block ×3, first 2 shown]
	ds_bpermute_b32 v6, v9, v4
	ds_bpermute_b32 v7, v9, v5
	;; [unrolled: 1-line block ×4, first 2 shown]
	s_waitcnt lgkmcnt(2)
	v_add_f64 v[4:5], v[4:5], v[6:7]
	s_waitcnt lgkmcnt(0)
	v_add_f64 v[6:7], v[2:3], v[8:9]
	v_cndmask_b32_e64 v2, 0, 1, vcc_lo
	s_delay_alu instid0(VALU_DEP_1) | instskip(NEXT) | instid1(VALU_DEP_1)
	v_lshlrev_b32_e32 v2, 4, v2
	v_add_lshl_u32 v9, v2, v10, 2
	ds_bpermute_b32 v2, v9, v4
	ds_bpermute_b32 v3, v9, v5
	;; [unrolled: 1-line block ×4, first 2 shown]
	s_waitcnt lgkmcnt(2)
	v_add_f64 v[2:3], v[4:5], v[2:3]
	s_waitcnt lgkmcnt(0)
	v_add_f64 v[4:5], v[6:7], v[8:9]
	v_dual_mov_b32 v7, 0 :: v_dual_and_b32 v6, 31, v0
	s_delay_alu instid0(VALU_DEP_1)
	v_cmpx_eq_u64_e32 0, v[6:7]
	s_cbranch_execz .LBB10_8
; %bb.7:
	v_lshrrev_b32_e32 v6, 1, v0
	s_delay_alu instid0(VALU_DEP_1)
	v_and_b32_e32 v6, 16, v6
	ds_store_b128 v6, v[2:5]
.LBB10_8:
	s_or_b32 exec_lo, exec_lo, s1
	v_cmp_eq_u32_e32 vcc_lo, 0, v0
	s_waitcnt lgkmcnt(0)
	s_barrier
	buffer_gl0_inv
	s_and_saveexec_b32 s1, vcc_lo
	s_cbranch_execz .LBB10_10
; %bb.9:
	v_mov_b32_e32 v10, 0
	ds_load_b128 v[6:9], v10 offset:16
	s_waitcnt lgkmcnt(0)
	v_add_f64 v[2:3], v[2:3], v[6:7]
	v_add_f64 v[4:5], v[4:5], v[8:9]
	ds_store_b128 v10, v[2:5]
.LBB10_10:
	s_or_b32 exec_lo, exec_lo, s1
	s_waitcnt lgkmcnt(0)
	s_barrier
	buffer_gl0_inv
	s_and_saveexec_b32 s9, vcc_lo
	s_cbranch_execz .LBB10_20
; %bb.11:
	s_mul_i32 s1, s15, s23
	s_mul_hi_u32 s17, s15, s22
	s_mul_i32 s16, s15, s22
	s_add_i32 s17, s17, s1
	v_mov_b32_e32 v2, 0
	s_lshl_b64 s[16:17], s[16:17], 4
	s_delay_alu instid0(SALU_CYCLE_1)
	s_add_u32 s1, s18, s16
	s_addc_u32 s18, s19, s17
	s_lshl_b64 s[16:17], s[20:21], 4
	ds_load_b64 v[8:9], v2
	s_add_u32 s16, s1, s16
	s_addc_u32 s17, s18, s17
	s_mul_i32 s1, s15, s3
	s_load_b64 s[18:19], s[16:17], 0x8
	s_mul_hi_u32 s3, s15, s2
	s_mul_i32 s2, s15, s2
	s_add_i32 s3, s3, s1
	s_mov_b32 s1, 0
	s_lshl_b64 s[2:3], s[2:3], 4
	s_delay_alu instid0(SALU_CYCLE_1)
	s_add_u32 s10, s10, s2
	s_addc_u32 s11, s11, s3
	s_cmp_eq_u64 s[34:35], 0
	s_cselect_b32 s15, -1, 0
	s_cmp_lg_u64 s[34:35], 0
	s_cselect_b32 s20, -1, 0
	s_waitcnt lgkmcnt(0)
	v_max_f64 v[3:4], v[8:9], v[8:9]
	v_mul_f64 v[6:7], s[18:19], s[18:19]
	s_delay_alu instid0(VALU_DEP_1) | instskip(NEXT) | instid1(VALU_DEP_1)
	v_max_f64 v[3:4], v[3:4], v[6:7]
	v_cmp_nlt_f64_e32 vcc_lo, 0, v[3:4]
	s_cbranch_vccz .LBB10_14
; %bb.12:
	v_dual_mov_b32 v3, 0x3ff00000 :: v_dual_mov_b32 v4, v2
	v_mov_b32_e32 v5, v2
	s_mov_b32 s3, 0
	s_and_b32 vcc_lo, exec_lo, s20
	ds_store_b128 v2, v[2:5]
	v_mov_b32_e32 v3, v2
	global_store_b128 v2, v[2:5], s[10:11]
                                        ; implicit-def: $vgpr4_vgpr5
	s_cbranch_vccz .LBB10_15
; %bb.13:
	v_mov_b32_e32 v2, 0
	s_mov_b32 s2, -1
	global_load_b64 v[2:3], v2, s[16:17]
	s_and_b32 vcc_lo, exec_lo, s3
	s_cbranch_vccnz .LBB10_16
	s_branch .LBB10_17
.LBB10_14:
	s_mov_b32 s3, -1
.LBB10_15:
	s_mov_b32 s2, 0
                                        ; implicit-def: $vgpr2_vgpr3
	s_and_b32 vcc_lo, exec_lo, s3
	s_cbranch_vccz .LBB10_17
.LBB10_16:
	s_load_b64 s[2:3], s[16:17], 0x0
	s_waitcnt vmcnt(0) lgkmcnt(0)
	v_fma_f64 v[2:3], s[2:3], s[2:3], v[6:7]
	s_delay_alu instid0(VALU_DEP_1) | instskip(NEXT) | instid1(VALU_DEP_1)
	v_add_f64 v[2:3], v[8:9], v[2:3]
	v_cmp_gt_f64_e32 vcc_lo, 0x10000000, v[2:3]
	v_cndmask_b32_e64 v4, 0, 1, vcc_lo
	s_and_b32 s1, vcc_lo, exec_lo
	s_cselect_b32 s1, 0xffffff80, 0
	s_delay_alu instid0(VALU_DEP_1) | instskip(NEXT) | instid1(VALU_DEP_1)
	v_lshlrev_b32_e32 v4, 8, v4
	v_ldexp_f64 v[2:3], v[2:3], v4
	s_delay_alu instid0(VALU_DEP_1) | instskip(SKIP_4) | instid1(VALU_DEP_1)
	v_rsq_f64_e32 v[4:5], v[2:3]
	v_cmp_class_f64_e64 vcc_lo, v[2:3], 0x260
	s_waitcnt_depctr 0xfff
	v_mul_f64 v[8:9], v[2:3], v[4:5]
	v_mul_f64 v[4:5], v[4:5], 0.5
	v_fma_f64 v[10:11], -v[4:5], v[8:9], 0.5
	s_delay_alu instid0(VALU_DEP_1) | instskip(SKIP_1) | instid1(VALU_DEP_2)
	v_fma_f64 v[8:9], v[8:9], v[10:11], v[8:9]
	v_fma_f64 v[4:5], v[4:5], v[10:11], v[4:5]
	v_fma_f64 v[10:11], -v[8:9], v[8:9], v[2:3]
	s_delay_alu instid0(VALU_DEP_1) | instskip(NEXT) | instid1(VALU_DEP_1)
	v_fma_f64 v[8:9], v[10:11], v[4:5], v[8:9]
	v_fma_f64 v[10:11], -v[8:9], v[8:9], v[2:3]
	s_delay_alu instid0(VALU_DEP_1) | instskip(NEXT) | instid1(VALU_DEP_1)
	v_fma_f64 v[4:5], v[10:11], v[4:5], v[8:9]
	v_ldexp_f64 v[4:5], v[4:5], s1
	s_delay_alu instid0(VALU_DEP_1) | instskip(SKIP_1) | instid1(VALU_DEP_2)
	v_dual_cndmask_b32 v3, v5, v3 :: v_dual_cndmask_b32 v2, v4, v2
	v_cmp_ge_f64_e64 vcc_lo, s[2:3], 0
	v_xor_b32_e32 v4, 0x80000000, v3
	s_delay_alu instid0(VALU_DEP_1) | instskip(NEXT) | instid1(VALU_DEP_1)
	v_cndmask_b32_e32 v3, v3, v4, vcc_lo
	v_add_f64 v[4:5], s[2:3], -v[2:3]
	v_add_f64 v[8:9], v[2:3], -s[2:3]
	v_div_scale_f64 v[16:17], null, v[2:3], v[2:3], -s[18:19]
	s_delay_alu instid0(VALU_DEP_3) | instskip(NEXT) | instid1(VALU_DEP_3)
	v_fma_f64 v[6:7], v[4:5], v[4:5], v[6:7]
	v_div_scale_f64 v[14:15], null, v[2:3], v[2:3], v[8:9]
	s_delay_alu instid0(VALU_DEP_3) | instskip(NEXT) | instid1(VALU_DEP_2)
	v_rcp_f64_e32 v[24:25], v[16:17]
	v_div_scale_f64 v[10:11], null, v[6:7], v[6:7], v[4:5]
	v_div_scale_f64 v[12:13], null, v[6:7], v[6:7], -s[18:19]
	s_delay_alu instid0(VALU_DEP_3)
	v_rcp_f64_e32 v[22:23], v[14:15]
	s_waitcnt_depctr 0xfff
	v_fma_f64 v[32:33], -v[16:17], v[24:25], 1.0
	v_div_scale_f64 v[34:35], vcc_lo, v[4:5], v[6:7], v[4:5]
	v_rcp_f64_e32 v[18:19], v[10:11]
	v_rcp_f64_e32 v[20:21], v[12:13]
	s_delay_alu instid0(VALU_DEP_2)
	v_fma_f64 v[24:25], v[24:25], v[32:33], v[24:25]
	v_fma_f64 v[30:31], -v[14:15], v[22:23], 1.0
	s_waitcnt_depctr 0xfff
	v_fma_f64 v[26:27], -v[10:11], v[18:19], 1.0
	v_fma_f64 v[28:29], -v[12:13], v[20:21], 1.0
	;; [unrolled: 1-line block ×3, first 2 shown]
	v_fma_f64 v[22:23], v[22:23], v[30:31], v[22:23]
	s_delay_alu instid0(VALU_DEP_4) | instskip(NEXT) | instid1(VALU_DEP_4)
	v_fma_f64 v[18:19], v[18:19], v[26:27], v[18:19]
	v_fma_f64 v[20:21], v[20:21], v[28:29], v[20:21]
	s_delay_alu instid0(VALU_DEP_4) | instskip(NEXT) | instid1(VALU_DEP_4)
	v_fma_f64 v[24:25], v[24:25], v[32:33], v[24:25]
	v_fma_f64 v[30:31], -v[14:15], v[22:23], 1.0
	s_delay_alu instid0(VALU_DEP_4) | instskip(NEXT) | instid1(VALU_DEP_4)
	v_fma_f64 v[26:27], -v[10:11], v[18:19], 1.0
	v_fma_f64 v[28:29], -v[12:13], v[20:21], 1.0
	s_delay_alu instid0(VALU_DEP_3) | instskip(SKIP_1) | instid1(VALU_DEP_4)
	v_fma_f64 v[22:23], v[22:23], v[30:31], v[22:23]
	v_div_scale_f64 v[30:31], s3, -s[18:19], v[2:3], -s[18:19]
	v_fma_f64 v[18:19], v[18:19], v[26:27], v[18:19]
	v_div_scale_f64 v[26:27], s1, -s[18:19], v[6:7], -s[18:19]
	v_fma_f64 v[20:21], v[20:21], v[28:29], v[20:21]
	v_div_scale_f64 v[28:29], s2, v[8:9], v[2:3], v[8:9]
	v_mul_f64 v[40:41], v[30:31], v[24:25]
	v_mul_f64 v[32:33], v[34:35], v[18:19]
	s_delay_alu instid0(VALU_DEP_4) | instskip(NEXT) | instid1(VALU_DEP_4)
	v_mul_f64 v[36:37], v[26:27], v[20:21]
	v_mul_f64 v[38:39], v[28:29], v[22:23]
	s_delay_alu instid0(VALU_DEP_4) | instskip(NEXT) | instid1(VALU_DEP_4)
	v_fma_f64 v[16:17], -v[16:17], v[40:41], v[30:31]
	v_fma_f64 v[10:11], -v[10:11], v[32:33], v[34:35]
	s_delay_alu instid0(VALU_DEP_4) | instskip(NEXT) | instid1(VALU_DEP_4)
	v_fma_f64 v[12:13], -v[12:13], v[36:37], v[26:27]
	v_fma_f64 v[14:15], -v[14:15], v[38:39], v[28:29]
	s_delay_alu instid0(VALU_DEP_3) | instskip(SKIP_2) | instid1(VALU_DEP_3)
	v_div_fmas_f64 v[10:11], v[10:11], v[18:19], v[32:33]
	s_mov_b32 vcc_lo, s1
	s_mov_b32 s1, s15
	v_div_fmas_f64 v[12:13], v[12:13], v[20:21], v[36:37]
	s_mov_b32 vcc_lo, s2
	s_mov_b32 s2, s20
	s_delay_alu instid0(VALU_DEP_3) | instskip(SKIP_2) | instid1(VALU_DEP_4)
	v_div_fmas_f64 v[14:15], v[14:15], v[22:23], v[38:39]
	s_mov_b32 vcc_lo, s3
	v_div_fmas_f64 v[16:17], v[16:17], v[24:25], v[40:41]
	v_div_fixup_f64 v[4:5], v[10:11], v[6:7], v[4:5]
	s_delay_alu instid0(VALU_DEP_4)
	v_div_fixup_f64 v[6:7], v[12:13], v[6:7], -s[18:19]
	v_mov_b32_e32 v12, 0
	v_div_fixup_f64 v[8:9], v[14:15], v[2:3], v[8:9]
	v_div_fixup_f64 v[10:11], v[16:17], v[2:3], -s[18:19]
	ds_store_b128 v12, v[4:7]
	global_store_b128 v12, v[8:11], s[10:11]
.LBB10_17:
	s_and_not1_b32 vcc_lo, exec_lo, s2
	s_cbranch_vccz .LBB10_24
; %bb.18:
	s_and_not1_b32 vcc_lo, exec_lo, s1
	s_cbranch_vccnz .LBB10_20
.LBB10_19:
	v_mov_b32_e32 v4, 0
	s_delay_alu instid0(VALU_DEP_1)
	v_mov_b32_e32 v5, v4
	s_waitcnt vmcnt(0) lgkmcnt(0)
	global_store_b128 v4, v[2:5], s[16:17]
.LBB10_20:
	s_or_b32 exec_lo, exec_lo, s9
	s_waitcnt vmcnt(0) lgkmcnt(0)
	s_waitcnt_vscnt null, 0x0
	s_barrier
	buffer_gl0_inv
	s_and_saveexec_b32 s1, s0
	s_cbranch_execz .LBB10_23
; %bb.21:
	v_mad_u64_u32 v[6:7], null, s6, v0, 0
	s_add_i32 s9, s24, s14
	s_lshl_b64 s[0:1], s[4:5], 4
	s_lshl_b64 s[2:3], s[8:9], 4
	s_add_u32 s0, s30, s0
	s_addc_u32 s1, s31, s1
	s_add_u32 s0, s0, s2
	s_delay_alu instid0(VALU_DEP_1) | instskip(SKIP_2) | instid1(VALU_DEP_1)
	v_mov_b32_e32 v2, v7
	s_addc_u32 s1, s1, s3
	s_lshl_b64 s[2:3], s[6:7], 10
	v_mad_u64_u32 v[3:4], null, s7, v0, v[2:3]
	s_delay_alu instid0(VALU_DEP_1) | instskip(SKIP_2) | instid1(VALU_DEP_1)
	v_dual_mov_b32 v2, 0 :: v_dual_mov_b32 v7, v3
	ds_load_b128 v[2:5], v2
	v_lshlrev_b64 v[6:7], 4, v[6:7]
	v_add_co_u32 v6, vcc_lo, s0, v6
	s_delay_alu instid0(VALU_DEP_2) | instskip(SKIP_1) | instid1(VALU_DEP_2)
	v_add_co_ci_u32_e32 v7, vcc_lo, s1, v7, vcc_lo
	s_mov_b32 s1, 0
	v_add_co_u32 v6, vcc_lo, v6, 8
	s_delay_alu instid0(VALU_DEP_2)
	v_add_co_ci_u32_e32 v7, vcc_lo, 0, v7, vcc_lo
	.p2align	6
.LBB10_22:                              ; =>This Inner Loop Header: Depth=1
	global_load_b128 v[8:11], v[6:7], off offset:-8
	v_add_co_u32 v0, vcc_lo, v0, 64
	v_add_co_ci_u32_e32 v1, vcc_lo, 0, v1, vcc_lo
	s_delay_alu instid0(VALU_DEP_1) | instskip(SKIP_4) | instid1(VALU_DEP_2)
	v_cmp_le_i64_e32 vcc_lo, s[12:13], v[0:1]
	s_or_b32 s1, vcc_lo, s1
	s_waitcnt vmcnt(0) lgkmcnt(0)
	v_mul_f64 v[12:13], v[4:5], v[10:11]
	v_mul_f64 v[14:15], v[2:3], v[10:11]
	v_fma_f64 v[10:11], v[2:3], v[8:9], -v[12:13]
	s_delay_alu instid0(VALU_DEP_2) | instskip(SKIP_2) | instid1(VALU_DEP_1)
	v_fma_f64 v[12:13], v[4:5], v[8:9], v[14:15]
	global_store_b128 v[6:7], v[10:13], off offset:-8
	v_add_co_u32 v6, s0, v6, s2
	v_add_co_ci_u32_e64 v7, s0, s3, v7, s0
	s_and_not1_b32 exec_lo, exec_lo, s1
	s_cbranch_execnz .LBB10_22
.LBB10_23:
	s_nop 0
	s_sendmsg sendmsg(MSG_DEALLOC_VGPRS)
	s_endpgm
.LBB10_24:
	v_dual_mov_b32 v4, s34 :: v_dual_mov_b32 v5, s35
	s_waitcnt vmcnt(0)
	flat_store_b64 v[4:5], v[2:3]
	v_mov_b32_e32 v2, 0
	v_mov_b32_e32 v3, 0x3ff00000
	s_branch .LBB10_19
	.section	.rodata,"a",@progbits
	.p2align	6, 0x0
	.amdhsa_kernel _ZN9rocsolver6v33100L18larfg_kernel_smallILi64E19rocblas_complex_numIdEldPS3_EEvT1_T3_llPT2_llS6_lS5_lPT0_l
		.amdhsa_group_segment_fixed_size 32
		.amdhsa_private_segment_fixed_size 0
		.amdhsa_kernarg_size 104
		.amdhsa_user_sgpr_count 14
		.amdhsa_user_sgpr_dispatch_ptr 0
		.amdhsa_user_sgpr_queue_ptr 0
		.amdhsa_user_sgpr_kernarg_segment_ptr 1
		.amdhsa_user_sgpr_dispatch_id 0
		.amdhsa_user_sgpr_private_segment_size 0
		.amdhsa_wavefront_size32 1
		.amdhsa_uses_dynamic_stack 0
		.amdhsa_enable_private_segment 0
		.amdhsa_system_sgpr_workgroup_id_x 1
		.amdhsa_system_sgpr_workgroup_id_y 0
		.amdhsa_system_sgpr_workgroup_id_z 1
		.amdhsa_system_sgpr_workgroup_info 0
		.amdhsa_system_vgpr_workitem_id 0
		.amdhsa_next_free_vgpr 42
		.amdhsa_next_free_sgpr 36
		.amdhsa_reserve_vcc 1
		.amdhsa_float_round_mode_32 0
		.amdhsa_float_round_mode_16_64 0
		.amdhsa_float_denorm_mode_32 3
		.amdhsa_float_denorm_mode_16_64 3
		.amdhsa_dx10_clamp 1
		.amdhsa_ieee_mode 1
		.amdhsa_fp16_overflow 0
		.amdhsa_workgroup_processor_mode 1
		.amdhsa_memory_ordered 1
		.amdhsa_forward_progress 0
		.amdhsa_shared_vgpr_count 0
		.amdhsa_exception_fp_ieee_invalid_op 0
		.amdhsa_exception_fp_denorm_src 0
		.amdhsa_exception_fp_ieee_div_zero 0
		.amdhsa_exception_fp_ieee_overflow 0
		.amdhsa_exception_fp_ieee_underflow 0
		.amdhsa_exception_fp_ieee_inexact 0
		.amdhsa_exception_int_div_zero 0
	.end_amdhsa_kernel
	.section	.text._ZN9rocsolver6v33100L18larfg_kernel_smallILi64E19rocblas_complex_numIdEldPS3_EEvT1_T3_llPT2_llS6_lS5_lPT0_l,"axG",@progbits,_ZN9rocsolver6v33100L18larfg_kernel_smallILi64E19rocblas_complex_numIdEldPS3_EEvT1_T3_llPT2_llS6_lS5_lPT0_l,comdat
.Lfunc_end10:
	.size	_ZN9rocsolver6v33100L18larfg_kernel_smallILi64E19rocblas_complex_numIdEldPS3_EEvT1_T3_llPT2_llS6_lS5_lPT0_l, .Lfunc_end10-_ZN9rocsolver6v33100L18larfg_kernel_smallILi64E19rocblas_complex_numIdEldPS3_EEvT1_T3_llPT2_llS6_lS5_lPT0_l
                                        ; -- End function
	.section	.AMDGPU.csdata,"",@progbits
; Kernel info:
; codeLenInByte = 2244
; NumSgprs: 38
; NumVgprs: 42
; ScratchSize: 0
; MemoryBound: 0
; FloatMode: 240
; IeeeMode: 1
; LDSByteSize: 32 bytes/workgroup (compile time only)
; SGPRBlocks: 4
; VGPRBlocks: 5
; NumSGPRsForWavesPerEU: 38
; NumVGPRsForWavesPerEU: 42
; Occupancy: 16
; WaveLimiterHint : 0
; COMPUTE_PGM_RSRC2:SCRATCH_EN: 0
; COMPUTE_PGM_RSRC2:USER_SGPR: 14
; COMPUTE_PGM_RSRC2:TRAP_HANDLER: 0
; COMPUTE_PGM_RSRC2:TGID_X_EN: 1
; COMPUTE_PGM_RSRC2:TGID_Y_EN: 0
; COMPUTE_PGM_RSRC2:TGID_Z_EN: 1
; COMPUTE_PGM_RSRC2:TIDIG_COMP_CNT: 0
	.section	.text._ZN9rocsolver6v33100L18larfg_kernel_smallILi128E19rocblas_complex_numIdEldPS3_EEvT1_T3_llPT2_llS6_lS5_lPT0_l,"axG",@progbits,_ZN9rocsolver6v33100L18larfg_kernel_smallILi128E19rocblas_complex_numIdEldPS3_EEvT1_T3_llPT2_llS6_lS5_lPT0_l,comdat
	.globl	_ZN9rocsolver6v33100L18larfg_kernel_smallILi128E19rocblas_complex_numIdEldPS3_EEvT1_T3_llPT2_llS6_lS5_lPT0_l ; -- Begin function _ZN9rocsolver6v33100L18larfg_kernel_smallILi128E19rocblas_complex_numIdEldPS3_EEvT1_T3_llPT2_llS6_lS5_lPT0_l
	.p2align	8
	.type	_ZN9rocsolver6v33100L18larfg_kernel_smallILi128E19rocblas_complex_numIdEldPS3_EEvT1_T3_llPT2_llS6_lS5_lPT0_l,@function
_ZN9rocsolver6v33100L18larfg_kernel_smallILi128E19rocblas_complex_numIdEldPS3_EEvT1_T3_llPT2_llS6_lS5_lPT0_l: ; @_ZN9rocsolver6v33100L18larfg_kernel_smallILi128E19rocblas_complex_numIdEldPS3_EEvT1_T3_llPT2_llS6_lS5_lPT0_l
; %bb.0:
	s_load_b512 s[16:31], s[0:1], 0x0
	s_mov_b64 s[34:35], 0
	s_waitcnt lgkmcnt(0)
	s_cmp_eq_u64 s[24:25], 0
	s_cbranch_scc1 .LBB11_2
; %bb.1:
	s_mul_i32 s3, s15, s29
	s_mul_hi_u32 s4, s15, s28
	s_mul_i32 s2, s15, s28
	s_add_i32 s3, s4, s3
	s_delay_alu instid0(SALU_CYCLE_1) | instskip(NEXT) | instid1(SALU_CYCLE_1)
	s_lshl_b64 s[2:3], s[2:3], 3
	s_add_u32 s4, s24, s2
	s_addc_u32 s5, s25, s3
	s_lshl_b64 s[2:3], s[26:27], 3
	s_delay_alu instid0(SALU_CYCLE_1)
	s_add_u32 s34, s4, s2
	s_addc_u32 s35, s5, s3
.LBB11_2:
	s_clause 0x1
	s_load_b256 s[4:11], s[0:1], 0x40
	s_load_b64 s[2:3], s[0:1], 0x60
	v_dual_mov_b32 v1, 0 :: v_dual_mov_b32 v2, 0
	v_mov_b32_e32 v3, 0
	s_add_u32 s12, s16, -1
	s_addc_u32 s13, s17, -1
	s_delay_alu instid0(VALU_DEP_2) | instid1(SALU_CYCLE_1)
	v_cmp_gt_i64_e64 s0, s[12:13], v[0:1]
	s_delay_alu instid0(VALU_DEP_2)
	v_dual_mov_b32 v5, v3 :: v_dual_mov_b32 v4, v2
	s_waitcnt lgkmcnt(0)
	s_mul_i32 s14, s9, s15
	s_mul_hi_u32 s24, s8, s15
	s_mul_i32 s8, s8, s15
	s_and_saveexec_b32 s25, s0
	s_cbranch_execz .LBB11_6
; %bb.3:
	v_mad_u64_u32 v[4:5], null, s6, v0, 0
	s_add_i32 s9, s24, s14
	s_lshl_b64 s[16:17], s[4:5], 4
	s_lshl_b64 s[26:27], s[8:9], 4
	s_add_u32 s1, s30, s16
	s_addc_u32 s9, s31, s17
	s_add_u32 s1, s1, s26
	s_delay_alu instid0(VALU_DEP_1) | instskip(SKIP_2) | instid1(VALU_DEP_1)
	v_mov_b32_e32 v2, v5
	s_addc_u32 s9, s9, s27
	s_lshl_b64 s[16:17], s[6:7], 11
	v_mad_u64_u32 v[5:6], null, s7, v0, v[2:3]
	v_dual_mov_b32 v2, 0 :: v_dual_mov_b32 v7, v1
	v_dual_mov_b32 v3, 0 :: v_dual_mov_b32 v6, v0
	s_delay_alu instid0(VALU_DEP_3) | instskip(NEXT) | instid1(VALU_DEP_1)
	v_lshlrev_b64 v[4:5], 4, v[4:5]
	v_add_co_u32 v8, vcc_lo, s1, v4
	s_delay_alu instid0(VALU_DEP_2) | instskip(NEXT) | instid1(VALU_DEP_4)
	v_add_co_ci_u32_e32 v9, vcc_lo, s9, v5, vcc_lo
	v_dual_mov_b32 v5, v3 :: v_dual_mov_b32 v4, v2
	s_mov_b32 s9, 0
	.p2align	6
.LBB11_4:                               ; =>This Inner Loop Header: Depth=1
	global_load_b128 v[10:13], v[8:9], off
	v_add_co_u32 v6, vcc_lo, 0x80, v6
	v_add_co_ci_u32_e32 v7, vcc_lo, 0, v7, vcc_lo
	v_add_co_u32 v8, s1, v8, s16
	s_delay_alu instid0(VALU_DEP_1) | instskip(NEXT) | instid1(VALU_DEP_3)
	v_add_co_ci_u32_e64 v9, s1, s17, v9, s1
	v_cmp_le_i64_e32 vcc_lo, s[12:13], v[6:7]
	s_or_b32 s9, vcc_lo, s9
	s_waitcnt vmcnt(0)
	v_mul_f64 v[14:15], v[12:13], v[12:13]
	v_mul_f64 v[16:17], v[10:11], v[12:13]
	s_delay_alu instid0(VALU_DEP_2) | instskip(NEXT) | instid1(VALU_DEP_2)
	v_fma_f64 v[14:15], v[10:11], v[10:11], v[14:15]
	v_fma_f64 v[10:11], v[10:11], v[12:13], -v[16:17]
	s_delay_alu instid0(VALU_DEP_2) | instskip(NEXT) | instid1(VALU_DEP_2)
	v_add_f64 v[4:5], v[4:5], v[14:15]
	v_add_f64 v[2:3], v[2:3], v[10:11]
	s_and_not1_b32 exec_lo, exec_lo, s9
	s_cbranch_execnz .LBB11_4
; %bb.5:
	s_or_b32 exec_lo, exec_lo, s9
.LBB11_6:
	s_delay_alu instid0(SALU_CYCLE_1) | instskip(SKIP_2) | instid1(VALU_DEP_1)
	s_or_b32 exec_lo, exec_lo, s25
	v_mbcnt_lo_u32_b32 v10, -1, 0
	s_mov_b32 s1, exec_lo
	v_cmp_ne_u32_e32 vcc_lo, 31, v10
	v_add_co_ci_u32_e32 v6, vcc_lo, 0, v10, vcc_lo
	v_cmp_gt_u32_e32 vcc_lo, 30, v10
	s_delay_alu instid0(VALU_DEP_2)
	v_lshlrev_b32_e32 v9, 2, v6
	ds_bpermute_b32 v6, v9, v4
	ds_bpermute_b32 v7, v9, v5
	ds_bpermute_b32 v8, v9, v2
	ds_bpermute_b32 v9, v9, v3
	s_waitcnt lgkmcnt(2)
	v_add_f64 v[4:5], v[4:5], v[6:7]
	v_cndmask_b32_e64 v6, 0, 1, vcc_lo
	s_waitcnt lgkmcnt(0)
	v_add_f64 v[2:3], v[2:3], v[8:9]
	v_cmp_gt_u32_e32 vcc_lo, 28, v10
	s_delay_alu instid0(VALU_DEP_3) | instskip(NEXT) | instid1(VALU_DEP_1)
	v_lshlrev_b32_e32 v6, 1, v6
	v_add_lshl_u32 v9, v6, v10, 2
	ds_bpermute_b32 v6, v9, v4
	ds_bpermute_b32 v7, v9, v5
	ds_bpermute_b32 v8, v9, v2
	ds_bpermute_b32 v9, v9, v3
	s_waitcnt lgkmcnt(2)
	v_add_f64 v[4:5], v[4:5], v[6:7]
	v_cndmask_b32_e64 v6, 0, 1, vcc_lo
	s_waitcnt lgkmcnt(0)
	v_add_f64 v[2:3], v[2:3], v[8:9]
	v_cmp_gt_u32_e32 vcc_lo, 24, v10
	s_delay_alu instid0(VALU_DEP_3) | instskip(NEXT) | instid1(VALU_DEP_1)
	v_lshlrev_b32_e32 v6, 2, v6
	v_add_lshl_u32 v9, v6, v10, 2
	;; [unrolled: 13-line block ×3, first 2 shown]
	ds_bpermute_b32 v6, v9, v4
	ds_bpermute_b32 v7, v9, v5
	;; [unrolled: 1-line block ×4, first 2 shown]
	s_waitcnt lgkmcnt(2)
	v_add_f64 v[4:5], v[4:5], v[6:7]
	s_waitcnt lgkmcnt(0)
	v_add_f64 v[6:7], v[2:3], v[8:9]
	v_cndmask_b32_e64 v2, 0, 1, vcc_lo
	s_delay_alu instid0(VALU_DEP_1) | instskip(NEXT) | instid1(VALU_DEP_1)
	v_lshlrev_b32_e32 v2, 4, v2
	v_add_lshl_u32 v9, v2, v10, 2
	ds_bpermute_b32 v2, v9, v4
	ds_bpermute_b32 v3, v9, v5
	;; [unrolled: 1-line block ×4, first 2 shown]
	s_waitcnt lgkmcnt(2)
	v_add_f64 v[2:3], v[4:5], v[2:3]
	s_waitcnt lgkmcnt(0)
	v_add_f64 v[4:5], v[6:7], v[8:9]
	v_dual_mov_b32 v7, 0 :: v_dual_and_b32 v6, 31, v0
	s_delay_alu instid0(VALU_DEP_1)
	v_cmpx_eq_u64_e32 0, v[6:7]
	s_cbranch_execz .LBB11_8
; %bb.7:
	v_lshrrev_b32_e32 v6, 1, v0
	s_delay_alu instid0(VALU_DEP_1)
	v_and_b32_e32 v6, 48, v6
	ds_store_b128 v6, v[2:5]
.LBB11_8:
	s_or_b32 exec_lo, exec_lo, s1
	v_cmp_eq_u32_e32 vcc_lo, 0, v0
	s_waitcnt lgkmcnt(0)
	s_barrier
	buffer_gl0_inv
	s_and_saveexec_b32 s1, vcc_lo
	s_cbranch_execz .LBB11_10
; %bb.9:
	v_mov_b32_e32 v14, 0
	ds_load_b128 v[6:9], v14 offset:16
	ds_load_b128 v[10:13], v14 offset:32
	s_waitcnt lgkmcnt(1)
	v_add_f64 v[2:3], v[2:3], v[6:7]
	v_add_f64 v[4:5], v[4:5], v[8:9]
	s_waitcnt lgkmcnt(0)
	s_delay_alu instid0(VALU_DEP_2) | instskip(NEXT) | instid1(VALU_DEP_2)
	v_add_f64 v[6:7], v[2:3], v[10:11]
	v_add_f64 v[8:9], v[4:5], v[12:13]
	ds_load_b128 v[2:5], v14 offset:48
	s_waitcnt lgkmcnt(0)
	v_add_f64 v[2:3], v[6:7], v[2:3]
	v_add_f64 v[4:5], v[8:9], v[4:5]
	ds_store_b128 v14, v[2:5]
.LBB11_10:
	s_or_b32 exec_lo, exec_lo, s1
	s_waitcnt lgkmcnt(0)
	s_barrier
	buffer_gl0_inv
	s_and_saveexec_b32 s9, vcc_lo
	s_cbranch_execz .LBB11_20
; %bb.11:
	s_mul_i32 s1, s15, s23
	s_mul_hi_u32 s17, s15, s22
	s_mul_i32 s16, s15, s22
	s_add_i32 s17, s17, s1
	v_mov_b32_e32 v2, 0
	s_lshl_b64 s[16:17], s[16:17], 4
	s_delay_alu instid0(SALU_CYCLE_1)
	s_add_u32 s1, s18, s16
	s_addc_u32 s18, s19, s17
	s_lshl_b64 s[16:17], s[20:21], 4
	ds_load_b64 v[8:9], v2
	s_add_u32 s16, s1, s16
	s_addc_u32 s17, s18, s17
	s_mul_i32 s1, s15, s3
	s_load_b64 s[18:19], s[16:17], 0x8
	s_mul_hi_u32 s3, s15, s2
	s_mul_i32 s2, s15, s2
	s_add_i32 s3, s3, s1
	s_mov_b32 s1, 0
	s_lshl_b64 s[2:3], s[2:3], 4
	s_delay_alu instid0(SALU_CYCLE_1)
	s_add_u32 s10, s10, s2
	s_addc_u32 s11, s11, s3
	s_cmp_eq_u64 s[34:35], 0
	s_cselect_b32 s15, -1, 0
	s_cmp_lg_u64 s[34:35], 0
	s_cselect_b32 s20, -1, 0
	s_waitcnt lgkmcnt(0)
	v_max_f64 v[3:4], v[8:9], v[8:9]
	v_mul_f64 v[6:7], s[18:19], s[18:19]
	s_delay_alu instid0(VALU_DEP_1) | instskip(NEXT) | instid1(VALU_DEP_1)
	v_max_f64 v[3:4], v[3:4], v[6:7]
	v_cmp_nlt_f64_e32 vcc_lo, 0, v[3:4]
	s_cbranch_vccz .LBB11_14
; %bb.12:
	v_dual_mov_b32 v3, 0x3ff00000 :: v_dual_mov_b32 v4, v2
	v_mov_b32_e32 v5, v2
	s_mov_b32 s3, 0
	s_and_b32 vcc_lo, exec_lo, s20
	ds_store_b128 v2, v[2:5]
	v_mov_b32_e32 v3, v2
	global_store_b128 v2, v[2:5], s[10:11]
                                        ; implicit-def: $vgpr4_vgpr5
	s_cbranch_vccz .LBB11_15
; %bb.13:
	v_mov_b32_e32 v2, 0
	s_mov_b32 s2, -1
	global_load_b64 v[2:3], v2, s[16:17]
	s_and_b32 vcc_lo, exec_lo, s3
	s_cbranch_vccnz .LBB11_16
	s_branch .LBB11_17
.LBB11_14:
	s_mov_b32 s3, -1
.LBB11_15:
	s_mov_b32 s2, 0
                                        ; implicit-def: $vgpr2_vgpr3
	s_and_b32 vcc_lo, exec_lo, s3
	s_cbranch_vccz .LBB11_17
.LBB11_16:
	s_load_b64 s[2:3], s[16:17], 0x0
	s_waitcnt vmcnt(0) lgkmcnt(0)
	v_fma_f64 v[2:3], s[2:3], s[2:3], v[6:7]
	s_delay_alu instid0(VALU_DEP_1) | instskip(NEXT) | instid1(VALU_DEP_1)
	v_add_f64 v[2:3], v[8:9], v[2:3]
	v_cmp_gt_f64_e32 vcc_lo, 0x10000000, v[2:3]
	v_cndmask_b32_e64 v4, 0, 1, vcc_lo
	s_and_b32 s1, vcc_lo, exec_lo
	s_cselect_b32 s1, 0xffffff80, 0
	s_delay_alu instid0(VALU_DEP_1) | instskip(NEXT) | instid1(VALU_DEP_1)
	v_lshlrev_b32_e32 v4, 8, v4
	v_ldexp_f64 v[2:3], v[2:3], v4
	s_delay_alu instid0(VALU_DEP_1) | instskip(SKIP_4) | instid1(VALU_DEP_1)
	v_rsq_f64_e32 v[4:5], v[2:3]
	v_cmp_class_f64_e64 vcc_lo, v[2:3], 0x260
	s_waitcnt_depctr 0xfff
	v_mul_f64 v[8:9], v[2:3], v[4:5]
	v_mul_f64 v[4:5], v[4:5], 0.5
	v_fma_f64 v[10:11], -v[4:5], v[8:9], 0.5
	s_delay_alu instid0(VALU_DEP_1) | instskip(SKIP_1) | instid1(VALU_DEP_2)
	v_fma_f64 v[8:9], v[8:9], v[10:11], v[8:9]
	v_fma_f64 v[4:5], v[4:5], v[10:11], v[4:5]
	v_fma_f64 v[10:11], -v[8:9], v[8:9], v[2:3]
	s_delay_alu instid0(VALU_DEP_1) | instskip(NEXT) | instid1(VALU_DEP_1)
	v_fma_f64 v[8:9], v[10:11], v[4:5], v[8:9]
	v_fma_f64 v[10:11], -v[8:9], v[8:9], v[2:3]
	s_delay_alu instid0(VALU_DEP_1) | instskip(NEXT) | instid1(VALU_DEP_1)
	v_fma_f64 v[4:5], v[10:11], v[4:5], v[8:9]
	v_ldexp_f64 v[4:5], v[4:5], s1
	s_delay_alu instid0(VALU_DEP_1) | instskip(SKIP_1) | instid1(VALU_DEP_2)
	v_dual_cndmask_b32 v3, v5, v3 :: v_dual_cndmask_b32 v2, v4, v2
	v_cmp_ge_f64_e64 vcc_lo, s[2:3], 0
	v_xor_b32_e32 v4, 0x80000000, v3
	s_delay_alu instid0(VALU_DEP_1) | instskip(NEXT) | instid1(VALU_DEP_1)
	v_cndmask_b32_e32 v3, v3, v4, vcc_lo
	v_add_f64 v[4:5], s[2:3], -v[2:3]
	v_add_f64 v[8:9], v[2:3], -s[2:3]
	v_div_scale_f64 v[16:17], null, v[2:3], v[2:3], -s[18:19]
	s_delay_alu instid0(VALU_DEP_3) | instskip(NEXT) | instid1(VALU_DEP_3)
	v_fma_f64 v[6:7], v[4:5], v[4:5], v[6:7]
	v_div_scale_f64 v[14:15], null, v[2:3], v[2:3], v[8:9]
	s_delay_alu instid0(VALU_DEP_3) | instskip(NEXT) | instid1(VALU_DEP_2)
	v_rcp_f64_e32 v[24:25], v[16:17]
	v_div_scale_f64 v[10:11], null, v[6:7], v[6:7], v[4:5]
	v_div_scale_f64 v[12:13], null, v[6:7], v[6:7], -s[18:19]
	s_delay_alu instid0(VALU_DEP_3)
	v_rcp_f64_e32 v[22:23], v[14:15]
	s_waitcnt_depctr 0xfff
	v_fma_f64 v[32:33], -v[16:17], v[24:25], 1.0
	v_div_scale_f64 v[34:35], vcc_lo, v[4:5], v[6:7], v[4:5]
	v_rcp_f64_e32 v[18:19], v[10:11]
	v_rcp_f64_e32 v[20:21], v[12:13]
	s_delay_alu instid0(VALU_DEP_2)
	v_fma_f64 v[24:25], v[24:25], v[32:33], v[24:25]
	v_fma_f64 v[30:31], -v[14:15], v[22:23], 1.0
	s_waitcnt_depctr 0xfff
	v_fma_f64 v[26:27], -v[10:11], v[18:19], 1.0
	v_fma_f64 v[28:29], -v[12:13], v[20:21], 1.0
	;; [unrolled: 1-line block ×3, first 2 shown]
	v_fma_f64 v[22:23], v[22:23], v[30:31], v[22:23]
	s_delay_alu instid0(VALU_DEP_4) | instskip(NEXT) | instid1(VALU_DEP_4)
	v_fma_f64 v[18:19], v[18:19], v[26:27], v[18:19]
	v_fma_f64 v[20:21], v[20:21], v[28:29], v[20:21]
	s_delay_alu instid0(VALU_DEP_4) | instskip(NEXT) | instid1(VALU_DEP_4)
	v_fma_f64 v[24:25], v[24:25], v[32:33], v[24:25]
	v_fma_f64 v[30:31], -v[14:15], v[22:23], 1.0
	s_delay_alu instid0(VALU_DEP_4) | instskip(NEXT) | instid1(VALU_DEP_4)
	v_fma_f64 v[26:27], -v[10:11], v[18:19], 1.0
	v_fma_f64 v[28:29], -v[12:13], v[20:21], 1.0
	s_delay_alu instid0(VALU_DEP_3) | instskip(SKIP_1) | instid1(VALU_DEP_4)
	v_fma_f64 v[22:23], v[22:23], v[30:31], v[22:23]
	v_div_scale_f64 v[30:31], s3, -s[18:19], v[2:3], -s[18:19]
	v_fma_f64 v[18:19], v[18:19], v[26:27], v[18:19]
	v_div_scale_f64 v[26:27], s1, -s[18:19], v[6:7], -s[18:19]
	v_fma_f64 v[20:21], v[20:21], v[28:29], v[20:21]
	v_div_scale_f64 v[28:29], s2, v[8:9], v[2:3], v[8:9]
	v_mul_f64 v[40:41], v[30:31], v[24:25]
	v_mul_f64 v[32:33], v[34:35], v[18:19]
	s_delay_alu instid0(VALU_DEP_4) | instskip(NEXT) | instid1(VALU_DEP_4)
	v_mul_f64 v[36:37], v[26:27], v[20:21]
	v_mul_f64 v[38:39], v[28:29], v[22:23]
	s_delay_alu instid0(VALU_DEP_4) | instskip(NEXT) | instid1(VALU_DEP_4)
	v_fma_f64 v[16:17], -v[16:17], v[40:41], v[30:31]
	v_fma_f64 v[10:11], -v[10:11], v[32:33], v[34:35]
	s_delay_alu instid0(VALU_DEP_4) | instskip(NEXT) | instid1(VALU_DEP_4)
	v_fma_f64 v[12:13], -v[12:13], v[36:37], v[26:27]
	v_fma_f64 v[14:15], -v[14:15], v[38:39], v[28:29]
	s_delay_alu instid0(VALU_DEP_3) | instskip(SKIP_2) | instid1(VALU_DEP_3)
	v_div_fmas_f64 v[10:11], v[10:11], v[18:19], v[32:33]
	s_mov_b32 vcc_lo, s1
	s_mov_b32 s1, s15
	v_div_fmas_f64 v[12:13], v[12:13], v[20:21], v[36:37]
	s_mov_b32 vcc_lo, s2
	s_mov_b32 s2, s20
	s_delay_alu instid0(VALU_DEP_3) | instskip(SKIP_2) | instid1(VALU_DEP_4)
	v_div_fmas_f64 v[14:15], v[14:15], v[22:23], v[38:39]
	s_mov_b32 vcc_lo, s3
	v_div_fmas_f64 v[16:17], v[16:17], v[24:25], v[40:41]
	v_div_fixup_f64 v[4:5], v[10:11], v[6:7], v[4:5]
	s_delay_alu instid0(VALU_DEP_4)
	v_div_fixup_f64 v[6:7], v[12:13], v[6:7], -s[18:19]
	v_mov_b32_e32 v12, 0
	v_div_fixup_f64 v[8:9], v[14:15], v[2:3], v[8:9]
	v_div_fixup_f64 v[10:11], v[16:17], v[2:3], -s[18:19]
	ds_store_b128 v12, v[4:7]
	global_store_b128 v12, v[8:11], s[10:11]
.LBB11_17:
	s_and_not1_b32 vcc_lo, exec_lo, s2
	s_cbranch_vccz .LBB11_24
; %bb.18:
	s_and_not1_b32 vcc_lo, exec_lo, s1
	s_cbranch_vccnz .LBB11_20
.LBB11_19:
	v_mov_b32_e32 v4, 0
	s_delay_alu instid0(VALU_DEP_1)
	v_mov_b32_e32 v5, v4
	s_waitcnt vmcnt(0) lgkmcnt(0)
	global_store_b128 v4, v[2:5], s[16:17]
.LBB11_20:
	s_or_b32 exec_lo, exec_lo, s9
	s_waitcnt vmcnt(0) lgkmcnt(0)
	s_waitcnt_vscnt null, 0x0
	s_barrier
	buffer_gl0_inv
	s_and_saveexec_b32 s1, s0
	s_cbranch_execz .LBB11_23
; %bb.21:
	v_mad_u64_u32 v[6:7], null, s6, v0, 0
	s_add_i32 s9, s24, s14
	s_lshl_b64 s[0:1], s[4:5], 4
	s_lshl_b64 s[2:3], s[8:9], 4
	s_add_u32 s0, s30, s0
	s_addc_u32 s1, s31, s1
	s_add_u32 s0, s0, s2
	s_delay_alu instid0(VALU_DEP_1) | instskip(SKIP_2) | instid1(VALU_DEP_1)
	v_mov_b32_e32 v2, v7
	s_addc_u32 s1, s1, s3
	s_lshl_b64 s[2:3], s[6:7], 11
	v_mad_u64_u32 v[3:4], null, s7, v0, v[2:3]
	s_delay_alu instid0(VALU_DEP_1) | instskip(SKIP_2) | instid1(VALU_DEP_1)
	v_dual_mov_b32 v2, 0 :: v_dual_mov_b32 v7, v3
	ds_load_b128 v[2:5], v2
	v_lshlrev_b64 v[6:7], 4, v[6:7]
	v_add_co_u32 v6, vcc_lo, s0, v6
	s_delay_alu instid0(VALU_DEP_2) | instskip(SKIP_1) | instid1(VALU_DEP_2)
	v_add_co_ci_u32_e32 v7, vcc_lo, s1, v7, vcc_lo
	s_mov_b32 s1, 0
	v_add_co_u32 v6, vcc_lo, v6, 8
	s_delay_alu instid0(VALU_DEP_2)
	v_add_co_ci_u32_e32 v7, vcc_lo, 0, v7, vcc_lo
	.p2align	6
.LBB11_22:                              ; =>This Inner Loop Header: Depth=1
	global_load_b128 v[8:11], v[6:7], off offset:-8
	v_add_co_u32 v0, vcc_lo, 0x80, v0
	v_add_co_ci_u32_e32 v1, vcc_lo, 0, v1, vcc_lo
	s_delay_alu instid0(VALU_DEP_1) | instskip(SKIP_4) | instid1(VALU_DEP_2)
	v_cmp_le_i64_e32 vcc_lo, s[12:13], v[0:1]
	s_or_b32 s1, vcc_lo, s1
	s_waitcnt vmcnt(0) lgkmcnt(0)
	v_mul_f64 v[12:13], v[4:5], v[10:11]
	v_mul_f64 v[14:15], v[2:3], v[10:11]
	v_fma_f64 v[10:11], v[2:3], v[8:9], -v[12:13]
	s_delay_alu instid0(VALU_DEP_2) | instskip(SKIP_2) | instid1(VALU_DEP_1)
	v_fma_f64 v[12:13], v[4:5], v[8:9], v[14:15]
	global_store_b128 v[6:7], v[10:13], off offset:-8
	v_add_co_u32 v6, s0, v6, s2
	v_add_co_ci_u32_e64 v7, s0, s3, v7, s0
	s_and_not1_b32 exec_lo, exec_lo, s1
	s_cbranch_execnz .LBB11_22
.LBB11_23:
	s_nop 0
	s_sendmsg sendmsg(MSG_DEALLOC_VGPRS)
	s_endpgm
.LBB11_24:
	v_dual_mov_b32 v4, s34 :: v_dual_mov_b32 v5, s35
	s_waitcnt vmcnt(0)
	flat_store_b64 v[4:5], v[2:3]
	v_mov_b32_e32 v2, 0
	v_mov_b32_e32 v3, 0x3ff00000
	s_branch .LBB11_19
	.section	.rodata,"a",@progbits
	.p2align	6, 0x0
	.amdhsa_kernel _ZN9rocsolver6v33100L18larfg_kernel_smallILi128E19rocblas_complex_numIdEldPS3_EEvT1_T3_llPT2_llS6_lS5_lPT0_l
		.amdhsa_group_segment_fixed_size 64
		.amdhsa_private_segment_fixed_size 0
		.amdhsa_kernarg_size 104
		.amdhsa_user_sgpr_count 14
		.amdhsa_user_sgpr_dispatch_ptr 0
		.amdhsa_user_sgpr_queue_ptr 0
		.amdhsa_user_sgpr_kernarg_segment_ptr 1
		.amdhsa_user_sgpr_dispatch_id 0
		.amdhsa_user_sgpr_private_segment_size 0
		.amdhsa_wavefront_size32 1
		.amdhsa_uses_dynamic_stack 0
		.amdhsa_enable_private_segment 0
		.amdhsa_system_sgpr_workgroup_id_x 1
		.amdhsa_system_sgpr_workgroup_id_y 0
		.amdhsa_system_sgpr_workgroup_id_z 1
		.amdhsa_system_sgpr_workgroup_info 0
		.amdhsa_system_vgpr_workitem_id 0
		.amdhsa_next_free_vgpr 42
		.amdhsa_next_free_sgpr 36
		.amdhsa_reserve_vcc 1
		.amdhsa_float_round_mode_32 0
		.amdhsa_float_round_mode_16_64 0
		.amdhsa_float_denorm_mode_32 3
		.amdhsa_float_denorm_mode_16_64 3
		.amdhsa_dx10_clamp 1
		.amdhsa_ieee_mode 1
		.amdhsa_fp16_overflow 0
		.amdhsa_workgroup_processor_mode 1
		.amdhsa_memory_ordered 1
		.amdhsa_forward_progress 0
		.amdhsa_shared_vgpr_count 0
		.amdhsa_exception_fp_ieee_invalid_op 0
		.amdhsa_exception_fp_denorm_src 0
		.amdhsa_exception_fp_ieee_div_zero 0
		.amdhsa_exception_fp_ieee_overflow 0
		.amdhsa_exception_fp_ieee_underflow 0
		.amdhsa_exception_fp_ieee_inexact 0
		.amdhsa_exception_int_div_zero 0
	.end_amdhsa_kernel
	.section	.text._ZN9rocsolver6v33100L18larfg_kernel_smallILi128E19rocblas_complex_numIdEldPS3_EEvT1_T3_llPT2_llS6_lS5_lPT0_l,"axG",@progbits,_ZN9rocsolver6v33100L18larfg_kernel_smallILi128E19rocblas_complex_numIdEldPS3_EEvT1_T3_llPT2_llS6_lS5_lPT0_l,comdat
.Lfunc_end11:
	.size	_ZN9rocsolver6v33100L18larfg_kernel_smallILi128E19rocblas_complex_numIdEldPS3_EEvT1_T3_llPT2_llS6_lS5_lPT0_l, .Lfunc_end11-_ZN9rocsolver6v33100L18larfg_kernel_smallILi128E19rocblas_complex_numIdEldPS3_EEvT1_T3_llPT2_llS6_lS5_lPT0_l
                                        ; -- End function
	.section	.AMDGPU.csdata,"",@progbits
; Kernel info:
; codeLenInByte = 2312
; NumSgprs: 38
; NumVgprs: 42
; ScratchSize: 0
; MemoryBound: 0
; FloatMode: 240
; IeeeMode: 1
; LDSByteSize: 64 bytes/workgroup (compile time only)
; SGPRBlocks: 4
; VGPRBlocks: 5
; NumSGPRsForWavesPerEU: 38
; NumVGPRsForWavesPerEU: 42
; Occupancy: 16
; WaveLimiterHint : 0
; COMPUTE_PGM_RSRC2:SCRATCH_EN: 0
; COMPUTE_PGM_RSRC2:USER_SGPR: 14
; COMPUTE_PGM_RSRC2:TRAP_HANDLER: 0
; COMPUTE_PGM_RSRC2:TGID_X_EN: 1
; COMPUTE_PGM_RSRC2:TGID_Y_EN: 0
; COMPUTE_PGM_RSRC2:TGID_Z_EN: 1
; COMPUTE_PGM_RSRC2:TIDIG_COMP_CNT: 0
	.section	.text._ZN9rocsolver6v33100L18larfg_kernel_smallILi256E19rocblas_complex_numIdEldPS3_EEvT1_T3_llPT2_llS6_lS5_lPT0_l,"axG",@progbits,_ZN9rocsolver6v33100L18larfg_kernel_smallILi256E19rocblas_complex_numIdEldPS3_EEvT1_T3_llPT2_llS6_lS5_lPT0_l,comdat
	.globl	_ZN9rocsolver6v33100L18larfg_kernel_smallILi256E19rocblas_complex_numIdEldPS3_EEvT1_T3_llPT2_llS6_lS5_lPT0_l ; -- Begin function _ZN9rocsolver6v33100L18larfg_kernel_smallILi256E19rocblas_complex_numIdEldPS3_EEvT1_T3_llPT2_llS6_lS5_lPT0_l
	.p2align	8
	.type	_ZN9rocsolver6v33100L18larfg_kernel_smallILi256E19rocblas_complex_numIdEldPS3_EEvT1_T3_llPT2_llS6_lS5_lPT0_l,@function
_ZN9rocsolver6v33100L18larfg_kernel_smallILi256E19rocblas_complex_numIdEldPS3_EEvT1_T3_llPT2_llS6_lS5_lPT0_l: ; @_ZN9rocsolver6v33100L18larfg_kernel_smallILi256E19rocblas_complex_numIdEldPS3_EEvT1_T3_llPT2_llS6_lS5_lPT0_l
; %bb.0:
	s_load_b512 s[16:31], s[0:1], 0x0
	s_mov_b64 s[34:35], 0
	s_waitcnt lgkmcnt(0)
	s_cmp_eq_u64 s[24:25], 0
	s_cbranch_scc1 .LBB12_2
; %bb.1:
	s_mul_i32 s3, s15, s29
	s_mul_hi_u32 s4, s15, s28
	s_mul_i32 s2, s15, s28
	s_add_i32 s3, s4, s3
	s_delay_alu instid0(SALU_CYCLE_1) | instskip(NEXT) | instid1(SALU_CYCLE_1)
	s_lshl_b64 s[2:3], s[2:3], 3
	s_add_u32 s4, s24, s2
	s_addc_u32 s5, s25, s3
	s_lshl_b64 s[2:3], s[26:27], 3
	s_delay_alu instid0(SALU_CYCLE_1)
	s_add_u32 s34, s4, s2
	s_addc_u32 s35, s5, s3
.LBB12_2:
	s_clause 0x1
	s_load_b256 s[4:11], s[0:1], 0x40
	s_load_b64 s[2:3], s[0:1], 0x60
	v_dual_mov_b32 v1, 0 :: v_dual_mov_b32 v2, 0
	v_mov_b32_e32 v3, 0
	s_add_u32 s12, s16, -1
	s_addc_u32 s13, s17, -1
	s_delay_alu instid0(VALU_DEP_2) | instid1(SALU_CYCLE_1)
	v_cmp_gt_i64_e64 s0, s[12:13], v[0:1]
	s_delay_alu instid0(VALU_DEP_2)
	v_dual_mov_b32 v5, v3 :: v_dual_mov_b32 v4, v2
	s_waitcnt lgkmcnt(0)
	s_mul_i32 s14, s9, s15
	s_mul_hi_u32 s24, s8, s15
	s_mul_i32 s8, s8, s15
	s_and_saveexec_b32 s25, s0
	s_cbranch_execz .LBB12_6
; %bb.3:
	v_mad_u64_u32 v[4:5], null, s6, v0, 0
	s_add_i32 s9, s24, s14
	s_lshl_b64 s[16:17], s[4:5], 4
	s_lshl_b64 s[26:27], s[8:9], 4
	s_add_u32 s1, s30, s16
	s_addc_u32 s9, s31, s17
	s_add_u32 s1, s1, s26
	s_delay_alu instid0(VALU_DEP_1) | instskip(SKIP_2) | instid1(VALU_DEP_1)
	v_mov_b32_e32 v2, v5
	s_addc_u32 s9, s9, s27
	s_lshl_b64 s[16:17], s[6:7], 12
	v_mad_u64_u32 v[5:6], null, s7, v0, v[2:3]
	v_dual_mov_b32 v2, 0 :: v_dual_mov_b32 v7, v1
	v_dual_mov_b32 v3, 0 :: v_dual_mov_b32 v6, v0
	s_delay_alu instid0(VALU_DEP_3) | instskip(NEXT) | instid1(VALU_DEP_1)
	v_lshlrev_b64 v[4:5], 4, v[4:5]
	v_add_co_u32 v8, vcc_lo, s1, v4
	s_delay_alu instid0(VALU_DEP_2) | instskip(NEXT) | instid1(VALU_DEP_4)
	v_add_co_ci_u32_e32 v9, vcc_lo, s9, v5, vcc_lo
	v_dual_mov_b32 v5, v3 :: v_dual_mov_b32 v4, v2
	s_mov_b32 s9, 0
	.p2align	6
.LBB12_4:                               ; =>This Inner Loop Header: Depth=1
	global_load_b128 v[10:13], v[8:9], off
	v_add_co_u32 v6, vcc_lo, 0x100, v6
	v_add_co_ci_u32_e32 v7, vcc_lo, 0, v7, vcc_lo
	v_add_co_u32 v8, s1, v8, s16
	s_delay_alu instid0(VALU_DEP_1) | instskip(NEXT) | instid1(VALU_DEP_3)
	v_add_co_ci_u32_e64 v9, s1, s17, v9, s1
	v_cmp_le_i64_e32 vcc_lo, s[12:13], v[6:7]
	s_or_b32 s9, vcc_lo, s9
	s_waitcnt vmcnt(0)
	v_mul_f64 v[14:15], v[12:13], v[12:13]
	v_mul_f64 v[16:17], v[10:11], v[12:13]
	s_delay_alu instid0(VALU_DEP_2) | instskip(NEXT) | instid1(VALU_DEP_2)
	v_fma_f64 v[14:15], v[10:11], v[10:11], v[14:15]
	v_fma_f64 v[10:11], v[10:11], v[12:13], -v[16:17]
	s_delay_alu instid0(VALU_DEP_2) | instskip(NEXT) | instid1(VALU_DEP_2)
	v_add_f64 v[4:5], v[4:5], v[14:15]
	v_add_f64 v[2:3], v[2:3], v[10:11]
	s_and_not1_b32 exec_lo, exec_lo, s9
	s_cbranch_execnz .LBB12_4
; %bb.5:
	s_or_b32 exec_lo, exec_lo, s9
.LBB12_6:
	s_delay_alu instid0(SALU_CYCLE_1) | instskip(SKIP_2) | instid1(VALU_DEP_1)
	s_or_b32 exec_lo, exec_lo, s25
	v_mbcnt_lo_u32_b32 v10, -1, 0
	s_mov_b32 s1, exec_lo
	v_cmp_ne_u32_e32 vcc_lo, 31, v10
	v_add_co_ci_u32_e32 v6, vcc_lo, 0, v10, vcc_lo
	v_cmp_gt_u32_e32 vcc_lo, 30, v10
	s_delay_alu instid0(VALU_DEP_2)
	v_lshlrev_b32_e32 v9, 2, v6
	ds_bpermute_b32 v6, v9, v4
	ds_bpermute_b32 v7, v9, v5
	ds_bpermute_b32 v8, v9, v2
	ds_bpermute_b32 v9, v9, v3
	s_waitcnt lgkmcnt(2)
	v_add_f64 v[4:5], v[4:5], v[6:7]
	v_cndmask_b32_e64 v6, 0, 1, vcc_lo
	s_waitcnt lgkmcnt(0)
	v_add_f64 v[2:3], v[2:3], v[8:9]
	v_cmp_gt_u32_e32 vcc_lo, 28, v10
	s_delay_alu instid0(VALU_DEP_3) | instskip(NEXT) | instid1(VALU_DEP_1)
	v_lshlrev_b32_e32 v6, 1, v6
	v_add_lshl_u32 v9, v6, v10, 2
	ds_bpermute_b32 v6, v9, v4
	ds_bpermute_b32 v7, v9, v5
	ds_bpermute_b32 v8, v9, v2
	ds_bpermute_b32 v9, v9, v3
	s_waitcnt lgkmcnt(2)
	v_add_f64 v[4:5], v[4:5], v[6:7]
	v_cndmask_b32_e64 v6, 0, 1, vcc_lo
	s_waitcnt lgkmcnt(0)
	v_add_f64 v[2:3], v[2:3], v[8:9]
	v_cmp_gt_u32_e32 vcc_lo, 24, v10
	s_delay_alu instid0(VALU_DEP_3) | instskip(NEXT) | instid1(VALU_DEP_1)
	v_lshlrev_b32_e32 v6, 2, v6
	v_add_lshl_u32 v9, v6, v10, 2
	;; [unrolled: 13-line block ×3, first 2 shown]
	ds_bpermute_b32 v6, v9, v4
	ds_bpermute_b32 v7, v9, v5
	;; [unrolled: 1-line block ×4, first 2 shown]
	s_waitcnt lgkmcnt(2)
	v_add_f64 v[4:5], v[4:5], v[6:7]
	s_waitcnt lgkmcnt(0)
	v_add_f64 v[6:7], v[2:3], v[8:9]
	v_cndmask_b32_e64 v2, 0, 1, vcc_lo
	s_delay_alu instid0(VALU_DEP_1) | instskip(NEXT) | instid1(VALU_DEP_1)
	v_lshlrev_b32_e32 v2, 4, v2
	v_add_lshl_u32 v9, v2, v10, 2
	ds_bpermute_b32 v2, v9, v4
	ds_bpermute_b32 v3, v9, v5
	;; [unrolled: 1-line block ×4, first 2 shown]
	s_waitcnt lgkmcnt(2)
	v_add_f64 v[2:3], v[4:5], v[2:3]
	s_waitcnt lgkmcnt(0)
	v_add_f64 v[4:5], v[6:7], v[8:9]
	v_dual_mov_b32 v7, 0 :: v_dual_and_b32 v6, 31, v0
	s_delay_alu instid0(VALU_DEP_1)
	v_cmpx_eq_u64_e32 0, v[6:7]
	s_cbranch_execz .LBB12_8
; %bb.7:
	v_lshrrev_b32_e32 v6, 1, v0
	s_delay_alu instid0(VALU_DEP_1)
	v_and_b32_e32 v6, 0x70, v6
	ds_store_b128 v6, v[2:5]
.LBB12_8:
	s_or_b32 exec_lo, exec_lo, s1
	v_cmp_eq_u32_e32 vcc_lo, 0, v0
	s_waitcnt lgkmcnt(0)
	s_barrier
	buffer_gl0_inv
	s_and_saveexec_b32 s1, vcc_lo
	s_cbranch_execz .LBB12_10
; %bb.9:
	v_mov_b32_e32 v14, 0
	ds_load_b128 v[6:9], v14 offset:16
	ds_load_b128 v[10:13], v14 offset:32
	s_waitcnt lgkmcnt(1)
	v_add_f64 v[2:3], v[2:3], v[6:7]
	v_add_f64 v[4:5], v[4:5], v[8:9]
	s_waitcnt lgkmcnt(0)
	s_delay_alu instid0(VALU_DEP_2) | instskip(NEXT) | instid1(VALU_DEP_2)
	v_add_f64 v[10:11], v[2:3], v[10:11]
	v_add_f64 v[12:13], v[4:5], v[12:13]
	ds_load_b128 v[2:5], v14 offset:48
	ds_load_b128 v[6:9], v14 offset:64
	s_waitcnt lgkmcnt(1)
	v_add_f64 v[2:3], v[10:11], v[2:3]
	v_add_f64 v[4:5], v[12:13], v[4:5]
	s_waitcnt lgkmcnt(0)
	s_delay_alu instid0(VALU_DEP_2) | instskip(NEXT) | instid1(VALU_DEP_2)
	v_add_f64 v[10:11], v[2:3], v[6:7]
	v_add_f64 v[12:13], v[4:5], v[8:9]
	;; [unrolled: 9-line block ×3, first 2 shown]
	ds_load_b128 v[2:5], v14 offset:112
	s_waitcnt lgkmcnt(0)
	v_add_f64 v[2:3], v[6:7], v[2:3]
	v_add_f64 v[4:5], v[8:9], v[4:5]
	ds_store_b128 v14, v[2:5]
.LBB12_10:
	s_or_b32 exec_lo, exec_lo, s1
	s_waitcnt lgkmcnt(0)
	s_barrier
	buffer_gl0_inv
	s_and_saveexec_b32 s9, vcc_lo
	s_cbranch_execz .LBB12_20
; %bb.11:
	s_mul_i32 s1, s15, s23
	s_mul_hi_u32 s17, s15, s22
	s_mul_i32 s16, s15, s22
	s_add_i32 s17, s17, s1
	v_mov_b32_e32 v2, 0
	s_lshl_b64 s[16:17], s[16:17], 4
	s_delay_alu instid0(SALU_CYCLE_1)
	s_add_u32 s1, s18, s16
	s_addc_u32 s18, s19, s17
	s_lshl_b64 s[16:17], s[20:21], 4
	ds_load_b64 v[8:9], v2
	s_add_u32 s16, s1, s16
	s_addc_u32 s17, s18, s17
	s_mul_i32 s1, s15, s3
	s_load_b64 s[18:19], s[16:17], 0x8
	s_mul_hi_u32 s3, s15, s2
	s_mul_i32 s2, s15, s2
	s_add_i32 s3, s3, s1
	s_mov_b32 s1, 0
	s_lshl_b64 s[2:3], s[2:3], 4
	s_delay_alu instid0(SALU_CYCLE_1)
	s_add_u32 s10, s10, s2
	s_addc_u32 s11, s11, s3
	s_cmp_eq_u64 s[34:35], 0
	s_cselect_b32 s15, -1, 0
	s_cmp_lg_u64 s[34:35], 0
	s_cselect_b32 s20, -1, 0
	s_waitcnt lgkmcnt(0)
	v_max_f64 v[3:4], v[8:9], v[8:9]
	v_mul_f64 v[6:7], s[18:19], s[18:19]
	s_delay_alu instid0(VALU_DEP_1) | instskip(NEXT) | instid1(VALU_DEP_1)
	v_max_f64 v[3:4], v[3:4], v[6:7]
	v_cmp_nlt_f64_e32 vcc_lo, 0, v[3:4]
	s_cbranch_vccz .LBB12_14
; %bb.12:
	v_dual_mov_b32 v3, 0x3ff00000 :: v_dual_mov_b32 v4, v2
	v_mov_b32_e32 v5, v2
	s_mov_b32 s3, 0
	s_and_b32 vcc_lo, exec_lo, s20
	ds_store_b128 v2, v[2:5]
	v_mov_b32_e32 v3, v2
	global_store_b128 v2, v[2:5], s[10:11]
                                        ; implicit-def: $vgpr4_vgpr5
	s_cbranch_vccz .LBB12_15
; %bb.13:
	v_mov_b32_e32 v2, 0
	s_mov_b32 s2, -1
	global_load_b64 v[2:3], v2, s[16:17]
	s_and_b32 vcc_lo, exec_lo, s3
	s_cbranch_vccnz .LBB12_16
	s_branch .LBB12_17
.LBB12_14:
	s_mov_b32 s3, -1
.LBB12_15:
	s_mov_b32 s2, 0
                                        ; implicit-def: $vgpr2_vgpr3
	s_and_b32 vcc_lo, exec_lo, s3
	s_cbranch_vccz .LBB12_17
.LBB12_16:
	s_load_b64 s[2:3], s[16:17], 0x0
	s_waitcnt vmcnt(0) lgkmcnt(0)
	v_fma_f64 v[2:3], s[2:3], s[2:3], v[6:7]
	s_delay_alu instid0(VALU_DEP_1) | instskip(NEXT) | instid1(VALU_DEP_1)
	v_add_f64 v[2:3], v[8:9], v[2:3]
	v_cmp_gt_f64_e32 vcc_lo, 0x10000000, v[2:3]
	v_cndmask_b32_e64 v4, 0, 1, vcc_lo
	s_and_b32 s1, vcc_lo, exec_lo
	s_cselect_b32 s1, 0xffffff80, 0
	s_delay_alu instid0(VALU_DEP_1) | instskip(NEXT) | instid1(VALU_DEP_1)
	v_lshlrev_b32_e32 v4, 8, v4
	v_ldexp_f64 v[2:3], v[2:3], v4
	s_delay_alu instid0(VALU_DEP_1) | instskip(SKIP_4) | instid1(VALU_DEP_1)
	v_rsq_f64_e32 v[4:5], v[2:3]
	v_cmp_class_f64_e64 vcc_lo, v[2:3], 0x260
	s_waitcnt_depctr 0xfff
	v_mul_f64 v[8:9], v[2:3], v[4:5]
	v_mul_f64 v[4:5], v[4:5], 0.5
	v_fma_f64 v[10:11], -v[4:5], v[8:9], 0.5
	s_delay_alu instid0(VALU_DEP_1) | instskip(SKIP_1) | instid1(VALU_DEP_2)
	v_fma_f64 v[8:9], v[8:9], v[10:11], v[8:9]
	v_fma_f64 v[4:5], v[4:5], v[10:11], v[4:5]
	v_fma_f64 v[10:11], -v[8:9], v[8:9], v[2:3]
	s_delay_alu instid0(VALU_DEP_1) | instskip(NEXT) | instid1(VALU_DEP_1)
	v_fma_f64 v[8:9], v[10:11], v[4:5], v[8:9]
	v_fma_f64 v[10:11], -v[8:9], v[8:9], v[2:3]
	s_delay_alu instid0(VALU_DEP_1) | instskip(NEXT) | instid1(VALU_DEP_1)
	v_fma_f64 v[4:5], v[10:11], v[4:5], v[8:9]
	v_ldexp_f64 v[4:5], v[4:5], s1
	s_delay_alu instid0(VALU_DEP_1) | instskip(SKIP_1) | instid1(VALU_DEP_2)
	v_dual_cndmask_b32 v3, v5, v3 :: v_dual_cndmask_b32 v2, v4, v2
	v_cmp_ge_f64_e64 vcc_lo, s[2:3], 0
	v_xor_b32_e32 v4, 0x80000000, v3
	s_delay_alu instid0(VALU_DEP_1) | instskip(NEXT) | instid1(VALU_DEP_1)
	v_cndmask_b32_e32 v3, v3, v4, vcc_lo
	v_add_f64 v[4:5], s[2:3], -v[2:3]
	v_add_f64 v[8:9], v[2:3], -s[2:3]
	v_div_scale_f64 v[16:17], null, v[2:3], v[2:3], -s[18:19]
	s_delay_alu instid0(VALU_DEP_3) | instskip(NEXT) | instid1(VALU_DEP_3)
	v_fma_f64 v[6:7], v[4:5], v[4:5], v[6:7]
	v_div_scale_f64 v[14:15], null, v[2:3], v[2:3], v[8:9]
	s_delay_alu instid0(VALU_DEP_3) | instskip(NEXT) | instid1(VALU_DEP_2)
	v_rcp_f64_e32 v[24:25], v[16:17]
	v_div_scale_f64 v[10:11], null, v[6:7], v[6:7], v[4:5]
	v_div_scale_f64 v[12:13], null, v[6:7], v[6:7], -s[18:19]
	s_delay_alu instid0(VALU_DEP_3)
	v_rcp_f64_e32 v[22:23], v[14:15]
	s_waitcnt_depctr 0xfff
	v_fma_f64 v[32:33], -v[16:17], v[24:25], 1.0
	v_div_scale_f64 v[34:35], vcc_lo, v[4:5], v[6:7], v[4:5]
	v_rcp_f64_e32 v[18:19], v[10:11]
	v_rcp_f64_e32 v[20:21], v[12:13]
	s_delay_alu instid0(VALU_DEP_2)
	v_fma_f64 v[24:25], v[24:25], v[32:33], v[24:25]
	v_fma_f64 v[30:31], -v[14:15], v[22:23], 1.0
	s_waitcnt_depctr 0xfff
	v_fma_f64 v[26:27], -v[10:11], v[18:19], 1.0
	v_fma_f64 v[28:29], -v[12:13], v[20:21], 1.0
	;; [unrolled: 1-line block ×3, first 2 shown]
	v_fma_f64 v[22:23], v[22:23], v[30:31], v[22:23]
	s_delay_alu instid0(VALU_DEP_4) | instskip(NEXT) | instid1(VALU_DEP_4)
	v_fma_f64 v[18:19], v[18:19], v[26:27], v[18:19]
	v_fma_f64 v[20:21], v[20:21], v[28:29], v[20:21]
	s_delay_alu instid0(VALU_DEP_4) | instskip(NEXT) | instid1(VALU_DEP_4)
	v_fma_f64 v[24:25], v[24:25], v[32:33], v[24:25]
	v_fma_f64 v[30:31], -v[14:15], v[22:23], 1.0
	s_delay_alu instid0(VALU_DEP_4) | instskip(NEXT) | instid1(VALU_DEP_4)
	v_fma_f64 v[26:27], -v[10:11], v[18:19], 1.0
	v_fma_f64 v[28:29], -v[12:13], v[20:21], 1.0
	s_delay_alu instid0(VALU_DEP_3) | instskip(SKIP_1) | instid1(VALU_DEP_4)
	v_fma_f64 v[22:23], v[22:23], v[30:31], v[22:23]
	v_div_scale_f64 v[30:31], s3, -s[18:19], v[2:3], -s[18:19]
	v_fma_f64 v[18:19], v[18:19], v[26:27], v[18:19]
	v_div_scale_f64 v[26:27], s1, -s[18:19], v[6:7], -s[18:19]
	v_fma_f64 v[20:21], v[20:21], v[28:29], v[20:21]
	v_div_scale_f64 v[28:29], s2, v[8:9], v[2:3], v[8:9]
	v_mul_f64 v[40:41], v[30:31], v[24:25]
	v_mul_f64 v[32:33], v[34:35], v[18:19]
	s_delay_alu instid0(VALU_DEP_4) | instskip(NEXT) | instid1(VALU_DEP_4)
	v_mul_f64 v[36:37], v[26:27], v[20:21]
	v_mul_f64 v[38:39], v[28:29], v[22:23]
	s_delay_alu instid0(VALU_DEP_4) | instskip(NEXT) | instid1(VALU_DEP_4)
	v_fma_f64 v[16:17], -v[16:17], v[40:41], v[30:31]
	v_fma_f64 v[10:11], -v[10:11], v[32:33], v[34:35]
	s_delay_alu instid0(VALU_DEP_4) | instskip(NEXT) | instid1(VALU_DEP_4)
	v_fma_f64 v[12:13], -v[12:13], v[36:37], v[26:27]
	v_fma_f64 v[14:15], -v[14:15], v[38:39], v[28:29]
	s_delay_alu instid0(VALU_DEP_3) | instskip(SKIP_2) | instid1(VALU_DEP_3)
	v_div_fmas_f64 v[10:11], v[10:11], v[18:19], v[32:33]
	s_mov_b32 vcc_lo, s1
	s_mov_b32 s1, s15
	v_div_fmas_f64 v[12:13], v[12:13], v[20:21], v[36:37]
	s_mov_b32 vcc_lo, s2
	s_mov_b32 s2, s20
	s_delay_alu instid0(VALU_DEP_3) | instskip(SKIP_2) | instid1(VALU_DEP_4)
	v_div_fmas_f64 v[14:15], v[14:15], v[22:23], v[38:39]
	s_mov_b32 vcc_lo, s3
	v_div_fmas_f64 v[16:17], v[16:17], v[24:25], v[40:41]
	v_div_fixup_f64 v[4:5], v[10:11], v[6:7], v[4:5]
	s_delay_alu instid0(VALU_DEP_4)
	v_div_fixup_f64 v[6:7], v[12:13], v[6:7], -s[18:19]
	v_mov_b32_e32 v12, 0
	v_div_fixup_f64 v[8:9], v[14:15], v[2:3], v[8:9]
	v_div_fixup_f64 v[10:11], v[16:17], v[2:3], -s[18:19]
	ds_store_b128 v12, v[4:7]
	global_store_b128 v12, v[8:11], s[10:11]
.LBB12_17:
	s_and_not1_b32 vcc_lo, exec_lo, s2
	s_cbranch_vccz .LBB12_24
; %bb.18:
	s_and_not1_b32 vcc_lo, exec_lo, s1
	s_cbranch_vccnz .LBB12_20
.LBB12_19:
	v_mov_b32_e32 v4, 0
	s_delay_alu instid0(VALU_DEP_1)
	v_mov_b32_e32 v5, v4
	s_waitcnt vmcnt(0) lgkmcnt(0)
	global_store_b128 v4, v[2:5], s[16:17]
.LBB12_20:
	s_or_b32 exec_lo, exec_lo, s9
	s_waitcnt vmcnt(0) lgkmcnt(0)
	s_waitcnt_vscnt null, 0x0
	s_barrier
	buffer_gl0_inv
	s_and_saveexec_b32 s1, s0
	s_cbranch_execz .LBB12_23
; %bb.21:
	v_mad_u64_u32 v[6:7], null, s6, v0, 0
	s_add_i32 s9, s24, s14
	s_lshl_b64 s[0:1], s[4:5], 4
	s_lshl_b64 s[2:3], s[8:9], 4
	s_add_u32 s0, s30, s0
	s_addc_u32 s1, s31, s1
	s_add_u32 s0, s0, s2
	s_delay_alu instid0(VALU_DEP_1) | instskip(SKIP_2) | instid1(VALU_DEP_1)
	v_mov_b32_e32 v2, v7
	s_addc_u32 s1, s1, s3
	s_lshl_b64 s[2:3], s[6:7], 12
	v_mad_u64_u32 v[3:4], null, s7, v0, v[2:3]
	s_delay_alu instid0(VALU_DEP_1) | instskip(SKIP_2) | instid1(VALU_DEP_1)
	v_dual_mov_b32 v2, 0 :: v_dual_mov_b32 v7, v3
	ds_load_b128 v[2:5], v2
	v_lshlrev_b64 v[6:7], 4, v[6:7]
	v_add_co_u32 v6, vcc_lo, s0, v6
	s_delay_alu instid0(VALU_DEP_2) | instskip(SKIP_1) | instid1(VALU_DEP_2)
	v_add_co_ci_u32_e32 v7, vcc_lo, s1, v7, vcc_lo
	s_mov_b32 s1, 0
	v_add_co_u32 v6, vcc_lo, v6, 8
	s_delay_alu instid0(VALU_DEP_2)
	v_add_co_ci_u32_e32 v7, vcc_lo, 0, v7, vcc_lo
	.p2align	6
.LBB12_22:                              ; =>This Inner Loop Header: Depth=1
	global_load_b128 v[8:11], v[6:7], off offset:-8
	v_add_co_u32 v0, vcc_lo, 0x100, v0
	v_add_co_ci_u32_e32 v1, vcc_lo, 0, v1, vcc_lo
	s_delay_alu instid0(VALU_DEP_1) | instskip(SKIP_4) | instid1(VALU_DEP_2)
	v_cmp_le_i64_e32 vcc_lo, s[12:13], v[0:1]
	s_or_b32 s1, vcc_lo, s1
	s_waitcnt vmcnt(0) lgkmcnt(0)
	v_mul_f64 v[12:13], v[4:5], v[10:11]
	v_mul_f64 v[14:15], v[2:3], v[10:11]
	v_fma_f64 v[10:11], v[2:3], v[8:9], -v[12:13]
	s_delay_alu instid0(VALU_DEP_2) | instskip(SKIP_2) | instid1(VALU_DEP_1)
	v_fma_f64 v[12:13], v[4:5], v[8:9], v[14:15]
	global_store_b128 v[6:7], v[10:13], off offset:-8
	v_add_co_u32 v6, s0, v6, s2
	v_add_co_ci_u32_e64 v7, s0, s3, v7, s0
	s_and_not1_b32 exec_lo, exec_lo, s1
	s_cbranch_execnz .LBB12_22
.LBB12_23:
	s_nop 0
	s_sendmsg sendmsg(MSG_DEALLOC_VGPRS)
	s_endpgm
.LBB12_24:
	v_dual_mov_b32 v4, s34 :: v_dual_mov_b32 v5, s35
	s_waitcnt vmcnt(0)
	flat_store_b64 v[4:5], v[2:3]
	v_mov_b32_e32 v2, 0
	v_mov_b32_e32 v3, 0x3ff00000
	s_branch .LBB12_19
	.section	.rodata,"a",@progbits
	.p2align	6, 0x0
	.amdhsa_kernel _ZN9rocsolver6v33100L18larfg_kernel_smallILi256E19rocblas_complex_numIdEldPS3_EEvT1_T3_llPT2_llS6_lS5_lPT0_l
		.amdhsa_group_segment_fixed_size 128
		.amdhsa_private_segment_fixed_size 0
		.amdhsa_kernarg_size 104
		.amdhsa_user_sgpr_count 14
		.amdhsa_user_sgpr_dispatch_ptr 0
		.amdhsa_user_sgpr_queue_ptr 0
		.amdhsa_user_sgpr_kernarg_segment_ptr 1
		.amdhsa_user_sgpr_dispatch_id 0
		.amdhsa_user_sgpr_private_segment_size 0
		.amdhsa_wavefront_size32 1
		.amdhsa_uses_dynamic_stack 0
		.amdhsa_enable_private_segment 0
		.amdhsa_system_sgpr_workgroup_id_x 1
		.amdhsa_system_sgpr_workgroup_id_y 0
		.amdhsa_system_sgpr_workgroup_id_z 1
		.amdhsa_system_sgpr_workgroup_info 0
		.amdhsa_system_vgpr_workitem_id 0
		.amdhsa_next_free_vgpr 42
		.amdhsa_next_free_sgpr 36
		.amdhsa_reserve_vcc 1
		.amdhsa_float_round_mode_32 0
		.amdhsa_float_round_mode_16_64 0
		.amdhsa_float_denorm_mode_32 3
		.amdhsa_float_denorm_mode_16_64 3
		.amdhsa_dx10_clamp 1
		.amdhsa_ieee_mode 1
		.amdhsa_fp16_overflow 0
		.amdhsa_workgroup_processor_mode 1
		.amdhsa_memory_ordered 1
		.amdhsa_forward_progress 0
		.amdhsa_shared_vgpr_count 0
		.amdhsa_exception_fp_ieee_invalid_op 0
		.amdhsa_exception_fp_denorm_src 0
		.amdhsa_exception_fp_ieee_div_zero 0
		.amdhsa_exception_fp_ieee_overflow 0
		.amdhsa_exception_fp_ieee_underflow 0
		.amdhsa_exception_fp_ieee_inexact 0
		.amdhsa_exception_int_div_zero 0
	.end_amdhsa_kernel
	.section	.text._ZN9rocsolver6v33100L18larfg_kernel_smallILi256E19rocblas_complex_numIdEldPS3_EEvT1_T3_llPT2_llS6_lS5_lPT0_l,"axG",@progbits,_ZN9rocsolver6v33100L18larfg_kernel_smallILi256E19rocblas_complex_numIdEldPS3_EEvT1_T3_llPT2_llS6_lS5_lPT0_l,comdat
.Lfunc_end12:
	.size	_ZN9rocsolver6v33100L18larfg_kernel_smallILi256E19rocblas_complex_numIdEldPS3_EEvT1_T3_llPT2_llS6_lS5_lPT0_l, .Lfunc_end12-_ZN9rocsolver6v33100L18larfg_kernel_smallILi256E19rocblas_complex_numIdEldPS3_EEvT1_T3_llPT2_llS6_lS5_lPT0_l
                                        ; -- End function
	.section	.AMDGPU.csdata,"",@progbits
; Kernel info:
; codeLenInByte = 2436
; NumSgprs: 38
; NumVgprs: 42
; ScratchSize: 0
; MemoryBound: 0
; FloatMode: 240
; IeeeMode: 1
; LDSByteSize: 128 bytes/workgroup (compile time only)
; SGPRBlocks: 4
; VGPRBlocks: 5
; NumSGPRsForWavesPerEU: 38
; NumVGPRsForWavesPerEU: 42
; Occupancy: 16
; WaveLimiterHint : 0
; COMPUTE_PGM_RSRC2:SCRATCH_EN: 0
; COMPUTE_PGM_RSRC2:USER_SGPR: 14
; COMPUTE_PGM_RSRC2:TRAP_HANDLER: 0
; COMPUTE_PGM_RSRC2:TGID_X_EN: 1
; COMPUTE_PGM_RSRC2:TGID_Y_EN: 0
; COMPUTE_PGM_RSRC2:TGID_Z_EN: 1
; COMPUTE_PGM_RSRC2:TIDIG_COMP_CNT: 0
	.section	.text._ZN9rocsolver6v33100L18larfg_kernel_smallILi512E19rocblas_complex_numIdEldPS3_EEvT1_T3_llPT2_llS6_lS5_lPT0_l,"axG",@progbits,_ZN9rocsolver6v33100L18larfg_kernel_smallILi512E19rocblas_complex_numIdEldPS3_EEvT1_T3_llPT2_llS6_lS5_lPT0_l,comdat
	.globl	_ZN9rocsolver6v33100L18larfg_kernel_smallILi512E19rocblas_complex_numIdEldPS3_EEvT1_T3_llPT2_llS6_lS5_lPT0_l ; -- Begin function _ZN9rocsolver6v33100L18larfg_kernel_smallILi512E19rocblas_complex_numIdEldPS3_EEvT1_T3_llPT2_llS6_lS5_lPT0_l
	.p2align	8
	.type	_ZN9rocsolver6v33100L18larfg_kernel_smallILi512E19rocblas_complex_numIdEldPS3_EEvT1_T3_llPT2_llS6_lS5_lPT0_l,@function
_ZN9rocsolver6v33100L18larfg_kernel_smallILi512E19rocblas_complex_numIdEldPS3_EEvT1_T3_llPT2_llS6_lS5_lPT0_l: ; @_ZN9rocsolver6v33100L18larfg_kernel_smallILi512E19rocblas_complex_numIdEldPS3_EEvT1_T3_llPT2_llS6_lS5_lPT0_l
; %bb.0:
	s_load_b512 s[16:31], s[0:1], 0x0
	s_mov_b64 s[34:35], 0
	s_waitcnt lgkmcnt(0)
	s_cmp_eq_u64 s[24:25], 0
	s_cbranch_scc1 .LBB13_2
; %bb.1:
	s_mul_i32 s3, s15, s29
	s_mul_hi_u32 s4, s15, s28
	s_mul_i32 s2, s15, s28
	s_add_i32 s3, s4, s3
	s_delay_alu instid0(SALU_CYCLE_1) | instskip(NEXT) | instid1(SALU_CYCLE_1)
	s_lshl_b64 s[2:3], s[2:3], 3
	s_add_u32 s4, s24, s2
	s_addc_u32 s5, s25, s3
	s_lshl_b64 s[2:3], s[26:27], 3
	s_delay_alu instid0(SALU_CYCLE_1)
	s_add_u32 s34, s4, s2
	s_addc_u32 s35, s5, s3
.LBB13_2:
	s_clause 0x1
	s_load_b256 s[4:11], s[0:1], 0x40
	s_load_b64 s[2:3], s[0:1], 0x60
	v_dual_mov_b32 v1, 0 :: v_dual_mov_b32 v2, 0
	v_mov_b32_e32 v3, 0
	s_add_u32 s12, s16, -1
	s_addc_u32 s13, s17, -1
	s_delay_alu instid0(VALU_DEP_2) | instid1(SALU_CYCLE_1)
	v_cmp_gt_i64_e64 s0, s[12:13], v[0:1]
	s_delay_alu instid0(VALU_DEP_2)
	v_dual_mov_b32 v5, v3 :: v_dual_mov_b32 v4, v2
	s_waitcnt lgkmcnt(0)
	s_mul_i32 s14, s9, s15
	s_mul_hi_u32 s24, s8, s15
	s_mul_i32 s8, s8, s15
	s_and_saveexec_b32 s25, s0
	s_cbranch_execz .LBB13_6
; %bb.3:
	v_mad_u64_u32 v[4:5], null, s6, v0, 0
	s_add_i32 s9, s24, s14
	s_lshl_b64 s[16:17], s[4:5], 4
	s_lshl_b64 s[26:27], s[8:9], 4
	s_add_u32 s1, s30, s16
	s_addc_u32 s9, s31, s17
	s_add_u32 s1, s1, s26
	s_delay_alu instid0(VALU_DEP_1) | instskip(SKIP_2) | instid1(VALU_DEP_1)
	v_mov_b32_e32 v2, v5
	s_addc_u32 s9, s9, s27
	s_lshl_b64 s[16:17], s[6:7], 13
	v_mad_u64_u32 v[5:6], null, s7, v0, v[2:3]
	v_dual_mov_b32 v2, 0 :: v_dual_mov_b32 v7, v1
	v_dual_mov_b32 v3, 0 :: v_dual_mov_b32 v6, v0
	s_delay_alu instid0(VALU_DEP_3) | instskip(NEXT) | instid1(VALU_DEP_1)
	v_lshlrev_b64 v[4:5], 4, v[4:5]
	v_add_co_u32 v8, vcc_lo, s1, v4
	s_delay_alu instid0(VALU_DEP_2) | instskip(NEXT) | instid1(VALU_DEP_4)
	v_add_co_ci_u32_e32 v9, vcc_lo, s9, v5, vcc_lo
	v_dual_mov_b32 v5, v3 :: v_dual_mov_b32 v4, v2
	s_mov_b32 s9, 0
	.p2align	6
.LBB13_4:                               ; =>This Inner Loop Header: Depth=1
	global_load_b128 v[10:13], v[8:9], off
	v_add_co_u32 v6, vcc_lo, 0x200, v6
	v_add_co_ci_u32_e32 v7, vcc_lo, 0, v7, vcc_lo
	v_add_co_u32 v8, s1, v8, s16
	s_delay_alu instid0(VALU_DEP_1) | instskip(NEXT) | instid1(VALU_DEP_3)
	v_add_co_ci_u32_e64 v9, s1, s17, v9, s1
	v_cmp_le_i64_e32 vcc_lo, s[12:13], v[6:7]
	s_or_b32 s9, vcc_lo, s9
	s_waitcnt vmcnt(0)
	v_mul_f64 v[14:15], v[12:13], v[12:13]
	v_mul_f64 v[16:17], v[10:11], v[12:13]
	s_delay_alu instid0(VALU_DEP_2) | instskip(NEXT) | instid1(VALU_DEP_2)
	v_fma_f64 v[14:15], v[10:11], v[10:11], v[14:15]
	v_fma_f64 v[10:11], v[10:11], v[12:13], -v[16:17]
	s_delay_alu instid0(VALU_DEP_2) | instskip(NEXT) | instid1(VALU_DEP_2)
	v_add_f64 v[4:5], v[4:5], v[14:15]
	v_add_f64 v[2:3], v[2:3], v[10:11]
	s_and_not1_b32 exec_lo, exec_lo, s9
	s_cbranch_execnz .LBB13_4
; %bb.5:
	s_or_b32 exec_lo, exec_lo, s9
.LBB13_6:
	s_delay_alu instid0(SALU_CYCLE_1) | instskip(SKIP_2) | instid1(VALU_DEP_1)
	s_or_b32 exec_lo, exec_lo, s25
	v_mbcnt_lo_u32_b32 v10, -1, 0
	s_mov_b32 s1, exec_lo
	v_cmp_ne_u32_e32 vcc_lo, 31, v10
	v_add_co_ci_u32_e32 v6, vcc_lo, 0, v10, vcc_lo
	v_cmp_gt_u32_e32 vcc_lo, 30, v10
	s_delay_alu instid0(VALU_DEP_2)
	v_lshlrev_b32_e32 v9, 2, v6
	ds_bpermute_b32 v6, v9, v4
	ds_bpermute_b32 v7, v9, v5
	ds_bpermute_b32 v8, v9, v2
	ds_bpermute_b32 v9, v9, v3
	s_waitcnt lgkmcnt(2)
	v_add_f64 v[4:5], v[4:5], v[6:7]
	v_cndmask_b32_e64 v6, 0, 1, vcc_lo
	s_waitcnt lgkmcnt(0)
	v_add_f64 v[2:3], v[2:3], v[8:9]
	v_cmp_gt_u32_e32 vcc_lo, 28, v10
	s_delay_alu instid0(VALU_DEP_3) | instskip(NEXT) | instid1(VALU_DEP_1)
	v_lshlrev_b32_e32 v6, 1, v6
	v_add_lshl_u32 v9, v6, v10, 2
	ds_bpermute_b32 v6, v9, v4
	ds_bpermute_b32 v7, v9, v5
	ds_bpermute_b32 v8, v9, v2
	ds_bpermute_b32 v9, v9, v3
	s_waitcnt lgkmcnt(2)
	v_add_f64 v[4:5], v[4:5], v[6:7]
	v_cndmask_b32_e64 v6, 0, 1, vcc_lo
	s_waitcnt lgkmcnt(0)
	v_add_f64 v[2:3], v[2:3], v[8:9]
	v_cmp_gt_u32_e32 vcc_lo, 24, v10
	s_delay_alu instid0(VALU_DEP_3) | instskip(NEXT) | instid1(VALU_DEP_1)
	v_lshlrev_b32_e32 v6, 2, v6
	v_add_lshl_u32 v9, v6, v10, 2
	;; [unrolled: 13-line block ×3, first 2 shown]
	ds_bpermute_b32 v6, v9, v4
	ds_bpermute_b32 v7, v9, v5
	ds_bpermute_b32 v8, v9, v2
	ds_bpermute_b32 v9, v9, v3
	s_waitcnt lgkmcnt(2)
	v_add_f64 v[4:5], v[4:5], v[6:7]
	s_waitcnt lgkmcnt(0)
	v_add_f64 v[6:7], v[2:3], v[8:9]
	v_cndmask_b32_e64 v2, 0, 1, vcc_lo
	s_delay_alu instid0(VALU_DEP_1) | instskip(NEXT) | instid1(VALU_DEP_1)
	v_lshlrev_b32_e32 v2, 4, v2
	v_add_lshl_u32 v9, v2, v10, 2
	ds_bpermute_b32 v2, v9, v4
	ds_bpermute_b32 v3, v9, v5
	;; [unrolled: 1-line block ×4, first 2 shown]
	s_waitcnt lgkmcnt(2)
	v_add_f64 v[2:3], v[4:5], v[2:3]
	s_waitcnt lgkmcnt(0)
	v_add_f64 v[4:5], v[6:7], v[8:9]
	v_dual_mov_b32 v7, 0 :: v_dual_and_b32 v6, 31, v0
	s_delay_alu instid0(VALU_DEP_1)
	v_cmpx_eq_u64_e32 0, v[6:7]
	s_cbranch_execz .LBB13_8
; %bb.7:
	v_lshrrev_b32_e32 v6, 1, v0
	s_delay_alu instid0(VALU_DEP_1)
	v_and_b32_e32 v6, 0xf0, v6
	ds_store_b128 v6, v[2:5]
.LBB13_8:
	s_or_b32 exec_lo, exec_lo, s1
	v_cmp_eq_u32_e32 vcc_lo, 0, v0
	s_waitcnt lgkmcnt(0)
	s_barrier
	buffer_gl0_inv
	s_and_saveexec_b32 s1, vcc_lo
	s_cbranch_execz .LBB13_10
; %bb.9:
	v_mov_b32_e32 v14, 0
	ds_load_b128 v[6:9], v14 offset:16
	ds_load_b128 v[10:13], v14 offset:32
	s_waitcnt lgkmcnt(1)
	v_add_f64 v[2:3], v[2:3], v[6:7]
	v_add_f64 v[4:5], v[4:5], v[8:9]
	s_waitcnt lgkmcnt(0)
	s_delay_alu instid0(VALU_DEP_2) | instskip(NEXT) | instid1(VALU_DEP_2)
	v_add_f64 v[10:11], v[2:3], v[10:11]
	v_add_f64 v[12:13], v[4:5], v[12:13]
	ds_load_b128 v[2:5], v14 offset:48
	ds_load_b128 v[6:9], v14 offset:64
	s_waitcnt lgkmcnt(1)
	v_add_f64 v[2:3], v[10:11], v[2:3]
	v_add_f64 v[4:5], v[12:13], v[4:5]
	s_waitcnt lgkmcnt(0)
	s_delay_alu instid0(VALU_DEP_2) | instskip(NEXT) | instid1(VALU_DEP_2)
	v_add_f64 v[10:11], v[2:3], v[6:7]
	v_add_f64 v[12:13], v[4:5], v[8:9]
	;; [unrolled: 9-line block ×7, first 2 shown]
	ds_load_b128 v[2:5], v14 offset:240
	s_waitcnt lgkmcnt(0)
	v_add_f64 v[2:3], v[6:7], v[2:3]
	v_add_f64 v[4:5], v[8:9], v[4:5]
	ds_store_b128 v14, v[2:5]
.LBB13_10:
	s_or_b32 exec_lo, exec_lo, s1
	s_waitcnt lgkmcnt(0)
	s_barrier
	buffer_gl0_inv
	s_and_saveexec_b32 s9, vcc_lo
	s_cbranch_execz .LBB13_20
; %bb.11:
	s_mul_i32 s1, s15, s23
	s_mul_hi_u32 s17, s15, s22
	s_mul_i32 s16, s15, s22
	s_add_i32 s17, s17, s1
	v_mov_b32_e32 v2, 0
	s_lshl_b64 s[16:17], s[16:17], 4
	s_delay_alu instid0(SALU_CYCLE_1)
	s_add_u32 s1, s18, s16
	s_addc_u32 s18, s19, s17
	s_lshl_b64 s[16:17], s[20:21], 4
	ds_load_b64 v[8:9], v2
	s_add_u32 s16, s1, s16
	s_addc_u32 s17, s18, s17
	s_mul_i32 s1, s15, s3
	s_load_b64 s[18:19], s[16:17], 0x8
	s_mul_hi_u32 s3, s15, s2
	s_mul_i32 s2, s15, s2
	s_add_i32 s3, s3, s1
	s_mov_b32 s1, 0
	s_lshl_b64 s[2:3], s[2:3], 4
	s_delay_alu instid0(SALU_CYCLE_1)
	s_add_u32 s10, s10, s2
	s_addc_u32 s11, s11, s3
	s_cmp_eq_u64 s[34:35], 0
	s_cselect_b32 s15, -1, 0
	s_cmp_lg_u64 s[34:35], 0
	s_cselect_b32 s20, -1, 0
	s_waitcnt lgkmcnt(0)
	v_max_f64 v[3:4], v[8:9], v[8:9]
	v_mul_f64 v[6:7], s[18:19], s[18:19]
	s_delay_alu instid0(VALU_DEP_1) | instskip(NEXT) | instid1(VALU_DEP_1)
	v_max_f64 v[3:4], v[3:4], v[6:7]
	v_cmp_nlt_f64_e32 vcc_lo, 0, v[3:4]
	s_cbranch_vccz .LBB13_14
; %bb.12:
	v_dual_mov_b32 v3, 0x3ff00000 :: v_dual_mov_b32 v4, v2
	v_mov_b32_e32 v5, v2
	s_mov_b32 s3, 0
	s_and_b32 vcc_lo, exec_lo, s20
	ds_store_b128 v2, v[2:5]
	v_mov_b32_e32 v3, v2
	global_store_b128 v2, v[2:5], s[10:11]
                                        ; implicit-def: $vgpr4_vgpr5
	s_cbranch_vccz .LBB13_15
; %bb.13:
	v_mov_b32_e32 v2, 0
	s_mov_b32 s2, -1
	global_load_b64 v[2:3], v2, s[16:17]
	s_and_b32 vcc_lo, exec_lo, s3
	s_cbranch_vccnz .LBB13_16
	s_branch .LBB13_17
.LBB13_14:
	s_mov_b32 s3, -1
.LBB13_15:
	s_mov_b32 s2, 0
                                        ; implicit-def: $vgpr2_vgpr3
	s_and_b32 vcc_lo, exec_lo, s3
	s_cbranch_vccz .LBB13_17
.LBB13_16:
	s_load_b64 s[2:3], s[16:17], 0x0
	s_waitcnt vmcnt(0) lgkmcnt(0)
	v_fma_f64 v[2:3], s[2:3], s[2:3], v[6:7]
	s_delay_alu instid0(VALU_DEP_1) | instskip(NEXT) | instid1(VALU_DEP_1)
	v_add_f64 v[2:3], v[8:9], v[2:3]
	v_cmp_gt_f64_e32 vcc_lo, 0x10000000, v[2:3]
	v_cndmask_b32_e64 v4, 0, 1, vcc_lo
	s_and_b32 s1, vcc_lo, exec_lo
	s_cselect_b32 s1, 0xffffff80, 0
	s_delay_alu instid0(VALU_DEP_1) | instskip(NEXT) | instid1(VALU_DEP_1)
	v_lshlrev_b32_e32 v4, 8, v4
	v_ldexp_f64 v[2:3], v[2:3], v4
	s_delay_alu instid0(VALU_DEP_1) | instskip(SKIP_4) | instid1(VALU_DEP_1)
	v_rsq_f64_e32 v[4:5], v[2:3]
	v_cmp_class_f64_e64 vcc_lo, v[2:3], 0x260
	s_waitcnt_depctr 0xfff
	v_mul_f64 v[8:9], v[2:3], v[4:5]
	v_mul_f64 v[4:5], v[4:5], 0.5
	v_fma_f64 v[10:11], -v[4:5], v[8:9], 0.5
	s_delay_alu instid0(VALU_DEP_1) | instskip(SKIP_1) | instid1(VALU_DEP_2)
	v_fma_f64 v[8:9], v[8:9], v[10:11], v[8:9]
	v_fma_f64 v[4:5], v[4:5], v[10:11], v[4:5]
	v_fma_f64 v[10:11], -v[8:9], v[8:9], v[2:3]
	s_delay_alu instid0(VALU_DEP_1) | instskip(NEXT) | instid1(VALU_DEP_1)
	v_fma_f64 v[8:9], v[10:11], v[4:5], v[8:9]
	v_fma_f64 v[10:11], -v[8:9], v[8:9], v[2:3]
	s_delay_alu instid0(VALU_DEP_1) | instskip(NEXT) | instid1(VALU_DEP_1)
	v_fma_f64 v[4:5], v[10:11], v[4:5], v[8:9]
	v_ldexp_f64 v[4:5], v[4:5], s1
	s_delay_alu instid0(VALU_DEP_1) | instskip(SKIP_1) | instid1(VALU_DEP_2)
	v_dual_cndmask_b32 v3, v5, v3 :: v_dual_cndmask_b32 v2, v4, v2
	v_cmp_ge_f64_e64 vcc_lo, s[2:3], 0
	v_xor_b32_e32 v4, 0x80000000, v3
	s_delay_alu instid0(VALU_DEP_1) | instskip(NEXT) | instid1(VALU_DEP_1)
	v_cndmask_b32_e32 v3, v3, v4, vcc_lo
	v_add_f64 v[4:5], s[2:3], -v[2:3]
	v_add_f64 v[8:9], v[2:3], -s[2:3]
	v_div_scale_f64 v[16:17], null, v[2:3], v[2:3], -s[18:19]
	s_delay_alu instid0(VALU_DEP_3) | instskip(NEXT) | instid1(VALU_DEP_3)
	v_fma_f64 v[6:7], v[4:5], v[4:5], v[6:7]
	v_div_scale_f64 v[14:15], null, v[2:3], v[2:3], v[8:9]
	s_delay_alu instid0(VALU_DEP_3) | instskip(NEXT) | instid1(VALU_DEP_2)
	v_rcp_f64_e32 v[24:25], v[16:17]
	v_div_scale_f64 v[10:11], null, v[6:7], v[6:7], v[4:5]
	v_div_scale_f64 v[12:13], null, v[6:7], v[6:7], -s[18:19]
	s_delay_alu instid0(VALU_DEP_3)
	v_rcp_f64_e32 v[22:23], v[14:15]
	s_waitcnt_depctr 0xfff
	v_fma_f64 v[32:33], -v[16:17], v[24:25], 1.0
	v_div_scale_f64 v[34:35], vcc_lo, v[4:5], v[6:7], v[4:5]
	v_rcp_f64_e32 v[18:19], v[10:11]
	v_rcp_f64_e32 v[20:21], v[12:13]
	s_delay_alu instid0(VALU_DEP_2)
	v_fma_f64 v[24:25], v[24:25], v[32:33], v[24:25]
	v_fma_f64 v[30:31], -v[14:15], v[22:23], 1.0
	s_waitcnt_depctr 0xfff
	v_fma_f64 v[26:27], -v[10:11], v[18:19], 1.0
	v_fma_f64 v[28:29], -v[12:13], v[20:21], 1.0
	v_fma_f64 v[32:33], -v[16:17], v[24:25], 1.0
	v_fma_f64 v[22:23], v[22:23], v[30:31], v[22:23]
	s_delay_alu instid0(VALU_DEP_4) | instskip(NEXT) | instid1(VALU_DEP_4)
	v_fma_f64 v[18:19], v[18:19], v[26:27], v[18:19]
	v_fma_f64 v[20:21], v[20:21], v[28:29], v[20:21]
	s_delay_alu instid0(VALU_DEP_4) | instskip(NEXT) | instid1(VALU_DEP_4)
	v_fma_f64 v[24:25], v[24:25], v[32:33], v[24:25]
	v_fma_f64 v[30:31], -v[14:15], v[22:23], 1.0
	s_delay_alu instid0(VALU_DEP_4) | instskip(NEXT) | instid1(VALU_DEP_4)
	v_fma_f64 v[26:27], -v[10:11], v[18:19], 1.0
	v_fma_f64 v[28:29], -v[12:13], v[20:21], 1.0
	s_delay_alu instid0(VALU_DEP_3) | instskip(SKIP_1) | instid1(VALU_DEP_4)
	v_fma_f64 v[22:23], v[22:23], v[30:31], v[22:23]
	v_div_scale_f64 v[30:31], s3, -s[18:19], v[2:3], -s[18:19]
	v_fma_f64 v[18:19], v[18:19], v[26:27], v[18:19]
	v_div_scale_f64 v[26:27], s1, -s[18:19], v[6:7], -s[18:19]
	v_fma_f64 v[20:21], v[20:21], v[28:29], v[20:21]
	v_div_scale_f64 v[28:29], s2, v[8:9], v[2:3], v[8:9]
	v_mul_f64 v[40:41], v[30:31], v[24:25]
	v_mul_f64 v[32:33], v[34:35], v[18:19]
	s_delay_alu instid0(VALU_DEP_4) | instskip(NEXT) | instid1(VALU_DEP_4)
	v_mul_f64 v[36:37], v[26:27], v[20:21]
	v_mul_f64 v[38:39], v[28:29], v[22:23]
	s_delay_alu instid0(VALU_DEP_4) | instskip(NEXT) | instid1(VALU_DEP_4)
	v_fma_f64 v[16:17], -v[16:17], v[40:41], v[30:31]
	v_fma_f64 v[10:11], -v[10:11], v[32:33], v[34:35]
	s_delay_alu instid0(VALU_DEP_4) | instskip(NEXT) | instid1(VALU_DEP_4)
	v_fma_f64 v[12:13], -v[12:13], v[36:37], v[26:27]
	v_fma_f64 v[14:15], -v[14:15], v[38:39], v[28:29]
	s_delay_alu instid0(VALU_DEP_3) | instskip(SKIP_2) | instid1(VALU_DEP_3)
	v_div_fmas_f64 v[10:11], v[10:11], v[18:19], v[32:33]
	s_mov_b32 vcc_lo, s1
	s_mov_b32 s1, s15
	v_div_fmas_f64 v[12:13], v[12:13], v[20:21], v[36:37]
	s_mov_b32 vcc_lo, s2
	s_mov_b32 s2, s20
	s_delay_alu instid0(VALU_DEP_3) | instskip(SKIP_2) | instid1(VALU_DEP_4)
	v_div_fmas_f64 v[14:15], v[14:15], v[22:23], v[38:39]
	s_mov_b32 vcc_lo, s3
	v_div_fmas_f64 v[16:17], v[16:17], v[24:25], v[40:41]
	v_div_fixup_f64 v[4:5], v[10:11], v[6:7], v[4:5]
	s_delay_alu instid0(VALU_DEP_4)
	v_div_fixup_f64 v[6:7], v[12:13], v[6:7], -s[18:19]
	v_mov_b32_e32 v12, 0
	v_div_fixup_f64 v[8:9], v[14:15], v[2:3], v[8:9]
	v_div_fixup_f64 v[10:11], v[16:17], v[2:3], -s[18:19]
	ds_store_b128 v12, v[4:7]
	global_store_b128 v12, v[8:11], s[10:11]
.LBB13_17:
	s_and_not1_b32 vcc_lo, exec_lo, s2
	s_cbranch_vccz .LBB13_24
; %bb.18:
	s_and_not1_b32 vcc_lo, exec_lo, s1
	s_cbranch_vccnz .LBB13_20
.LBB13_19:
	v_mov_b32_e32 v4, 0
	s_delay_alu instid0(VALU_DEP_1)
	v_mov_b32_e32 v5, v4
	s_waitcnt vmcnt(0) lgkmcnt(0)
	global_store_b128 v4, v[2:5], s[16:17]
.LBB13_20:
	s_or_b32 exec_lo, exec_lo, s9
	s_waitcnt vmcnt(0) lgkmcnt(0)
	s_waitcnt_vscnt null, 0x0
	s_barrier
	buffer_gl0_inv
	s_and_saveexec_b32 s1, s0
	s_cbranch_execz .LBB13_23
; %bb.21:
	v_mad_u64_u32 v[6:7], null, s6, v0, 0
	s_add_i32 s9, s24, s14
	s_lshl_b64 s[0:1], s[4:5], 4
	s_lshl_b64 s[2:3], s[8:9], 4
	s_add_u32 s0, s30, s0
	s_addc_u32 s1, s31, s1
	s_add_u32 s0, s0, s2
	s_delay_alu instid0(VALU_DEP_1) | instskip(SKIP_2) | instid1(VALU_DEP_1)
	v_mov_b32_e32 v2, v7
	s_addc_u32 s1, s1, s3
	s_lshl_b64 s[2:3], s[6:7], 13
	v_mad_u64_u32 v[3:4], null, s7, v0, v[2:3]
	s_delay_alu instid0(VALU_DEP_1) | instskip(SKIP_2) | instid1(VALU_DEP_1)
	v_dual_mov_b32 v2, 0 :: v_dual_mov_b32 v7, v3
	ds_load_b128 v[2:5], v2
	v_lshlrev_b64 v[6:7], 4, v[6:7]
	v_add_co_u32 v6, vcc_lo, s0, v6
	s_delay_alu instid0(VALU_DEP_2) | instskip(SKIP_1) | instid1(VALU_DEP_2)
	v_add_co_ci_u32_e32 v7, vcc_lo, s1, v7, vcc_lo
	s_mov_b32 s1, 0
	v_add_co_u32 v6, vcc_lo, v6, 8
	s_delay_alu instid0(VALU_DEP_2)
	v_add_co_ci_u32_e32 v7, vcc_lo, 0, v7, vcc_lo
	.p2align	6
.LBB13_22:                              ; =>This Inner Loop Header: Depth=1
	global_load_b128 v[8:11], v[6:7], off offset:-8
	v_add_co_u32 v0, vcc_lo, 0x200, v0
	v_add_co_ci_u32_e32 v1, vcc_lo, 0, v1, vcc_lo
	s_delay_alu instid0(VALU_DEP_1) | instskip(SKIP_4) | instid1(VALU_DEP_2)
	v_cmp_le_i64_e32 vcc_lo, s[12:13], v[0:1]
	s_or_b32 s1, vcc_lo, s1
	s_waitcnt vmcnt(0) lgkmcnt(0)
	v_mul_f64 v[12:13], v[4:5], v[10:11]
	v_mul_f64 v[14:15], v[2:3], v[10:11]
	v_fma_f64 v[10:11], v[2:3], v[8:9], -v[12:13]
	s_delay_alu instid0(VALU_DEP_2) | instskip(SKIP_2) | instid1(VALU_DEP_1)
	v_fma_f64 v[12:13], v[4:5], v[8:9], v[14:15]
	global_store_b128 v[6:7], v[10:13], off offset:-8
	v_add_co_u32 v6, s0, v6, s2
	v_add_co_ci_u32_e64 v7, s0, s3, v7, s0
	s_and_not1_b32 exec_lo, exec_lo, s1
	s_cbranch_execnz .LBB13_22
.LBB13_23:
	s_nop 0
	s_sendmsg sendmsg(MSG_DEALLOC_VGPRS)
	s_endpgm
.LBB13_24:
	v_dual_mov_b32 v4, s34 :: v_dual_mov_b32 v5, s35
	s_waitcnt vmcnt(0)
	flat_store_b64 v[4:5], v[2:3]
	v_mov_b32_e32 v2, 0
	v_mov_b32_e32 v3, 0x3ff00000
	s_branch .LBB13_19
	.section	.rodata,"a",@progbits
	.p2align	6, 0x0
	.amdhsa_kernel _ZN9rocsolver6v33100L18larfg_kernel_smallILi512E19rocblas_complex_numIdEldPS3_EEvT1_T3_llPT2_llS6_lS5_lPT0_l
		.amdhsa_group_segment_fixed_size 256
		.amdhsa_private_segment_fixed_size 0
		.amdhsa_kernarg_size 104
		.amdhsa_user_sgpr_count 14
		.amdhsa_user_sgpr_dispatch_ptr 0
		.amdhsa_user_sgpr_queue_ptr 0
		.amdhsa_user_sgpr_kernarg_segment_ptr 1
		.amdhsa_user_sgpr_dispatch_id 0
		.amdhsa_user_sgpr_private_segment_size 0
		.amdhsa_wavefront_size32 1
		.amdhsa_uses_dynamic_stack 0
		.amdhsa_enable_private_segment 0
		.amdhsa_system_sgpr_workgroup_id_x 1
		.amdhsa_system_sgpr_workgroup_id_y 0
		.amdhsa_system_sgpr_workgroup_id_z 1
		.amdhsa_system_sgpr_workgroup_info 0
		.amdhsa_system_vgpr_workitem_id 0
		.amdhsa_next_free_vgpr 42
		.amdhsa_next_free_sgpr 36
		.amdhsa_reserve_vcc 1
		.amdhsa_float_round_mode_32 0
		.amdhsa_float_round_mode_16_64 0
		.amdhsa_float_denorm_mode_32 3
		.amdhsa_float_denorm_mode_16_64 3
		.amdhsa_dx10_clamp 1
		.amdhsa_ieee_mode 1
		.amdhsa_fp16_overflow 0
		.amdhsa_workgroup_processor_mode 1
		.amdhsa_memory_ordered 1
		.amdhsa_forward_progress 0
		.amdhsa_shared_vgpr_count 0
		.amdhsa_exception_fp_ieee_invalid_op 0
		.amdhsa_exception_fp_denorm_src 0
		.amdhsa_exception_fp_ieee_div_zero 0
		.amdhsa_exception_fp_ieee_overflow 0
		.amdhsa_exception_fp_ieee_underflow 0
		.amdhsa_exception_fp_ieee_inexact 0
		.amdhsa_exception_int_div_zero 0
	.end_amdhsa_kernel
	.section	.text._ZN9rocsolver6v33100L18larfg_kernel_smallILi512E19rocblas_complex_numIdEldPS3_EEvT1_T3_llPT2_llS6_lS5_lPT0_l,"axG",@progbits,_ZN9rocsolver6v33100L18larfg_kernel_smallILi512E19rocblas_complex_numIdEldPS3_EEvT1_T3_llPT2_llS6_lS5_lPT0_l,comdat
.Lfunc_end13:
	.size	_ZN9rocsolver6v33100L18larfg_kernel_smallILi512E19rocblas_complex_numIdEldPS3_EEvT1_T3_llPT2_llS6_lS5_lPT0_l, .Lfunc_end13-_ZN9rocsolver6v33100L18larfg_kernel_smallILi512E19rocblas_complex_numIdEldPS3_EEvT1_T3_llPT2_llS6_lS5_lPT0_l
                                        ; -- End function
	.section	.AMDGPU.csdata,"",@progbits
; Kernel info:
; codeLenInByte = 2676
; NumSgprs: 38
; NumVgprs: 42
; ScratchSize: 0
; MemoryBound: 0
; FloatMode: 240
; IeeeMode: 1
; LDSByteSize: 256 bytes/workgroup (compile time only)
; SGPRBlocks: 4
; VGPRBlocks: 5
; NumSGPRsForWavesPerEU: 38
; NumVGPRsForWavesPerEU: 42
; Occupancy: 16
; WaveLimiterHint : 0
; COMPUTE_PGM_RSRC2:SCRATCH_EN: 0
; COMPUTE_PGM_RSRC2:USER_SGPR: 14
; COMPUTE_PGM_RSRC2:TRAP_HANDLER: 0
; COMPUTE_PGM_RSRC2:TGID_X_EN: 1
; COMPUTE_PGM_RSRC2:TGID_Y_EN: 0
; COMPUTE_PGM_RSRC2:TGID_Z_EN: 1
; COMPUTE_PGM_RSRC2:TIDIG_COMP_CNT: 0
	.section	.text._ZN9rocsolver6v33100L18larfg_kernel_smallILi1024E19rocblas_complex_numIdEldPS3_EEvT1_T3_llPT2_llS6_lS5_lPT0_l,"axG",@progbits,_ZN9rocsolver6v33100L18larfg_kernel_smallILi1024E19rocblas_complex_numIdEldPS3_EEvT1_T3_llPT2_llS6_lS5_lPT0_l,comdat
	.globl	_ZN9rocsolver6v33100L18larfg_kernel_smallILi1024E19rocblas_complex_numIdEldPS3_EEvT1_T3_llPT2_llS6_lS5_lPT0_l ; -- Begin function _ZN9rocsolver6v33100L18larfg_kernel_smallILi1024E19rocblas_complex_numIdEldPS3_EEvT1_T3_llPT2_llS6_lS5_lPT0_l
	.p2align	8
	.type	_ZN9rocsolver6v33100L18larfg_kernel_smallILi1024E19rocblas_complex_numIdEldPS3_EEvT1_T3_llPT2_llS6_lS5_lPT0_l,@function
_ZN9rocsolver6v33100L18larfg_kernel_smallILi1024E19rocblas_complex_numIdEldPS3_EEvT1_T3_llPT2_llS6_lS5_lPT0_l: ; @_ZN9rocsolver6v33100L18larfg_kernel_smallILi1024E19rocblas_complex_numIdEldPS3_EEvT1_T3_llPT2_llS6_lS5_lPT0_l
; %bb.0:
	s_load_b512 s[16:31], s[0:1], 0x0
	s_mov_b64 s[34:35], 0
	s_waitcnt lgkmcnt(0)
	s_cmp_eq_u64 s[24:25], 0
	s_cbranch_scc1 .LBB14_2
; %bb.1:
	s_mul_i32 s3, s15, s29
	s_mul_hi_u32 s4, s15, s28
	s_mul_i32 s2, s15, s28
	s_add_i32 s3, s4, s3
	s_delay_alu instid0(SALU_CYCLE_1) | instskip(NEXT) | instid1(SALU_CYCLE_1)
	s_lshl_b64 s[2:3], s[2:3], 3
	s_add_u32 s4, s24, s2
	s_addc_u32 s5, s25, s3
	s_lshl_b64 s[2:3], s[26:27], 3
	s_delay_alu instid0(SALU_CYCLE_1)
	s_add_u32 s34, s4, s2
	s_addc_u32 s35, s5, s3
.LBB14_2:
	s_clause 0x1
	s_load_b256 s[4:11], s[0:1], 0x40
	s_load_b64 s[2:3], s[0:1], 0x60
	v_dual_mov_b32 v1, 0 :: v_dual_mov_b32 v2, 0
	v_mov_b32_e32 v3, 0
	s_add_u32 s12, s16, -1
	s_addc_u32 s13, s17, -1
	s_delay_alu instid0(VALU_DEP_2) | instid1(SALU_CYCLE_1)
	v_cmp_gt_i64_e64 s0, s[12:13], v[0:1]
	s_delay_alu instid0(VALU_DEP_2)
	v_dual_mov_b32 v5, v3 :: v_dual_mov_b32 v4, v2
	s_waitcnt lgkmcnt(0)
	s_mul_i32 s14, s9, s15
	s_mul_hi_u32 s24, s8, s15
	s_mul_i32 s8, s8, s15
	s_and_saveexec_b32 s25, s0
	s_cbranch_execz .LBB14_6
; %bb.3:
	v_mad_u64_u32 v[4:5], null, s6, v0, 0
	s_add_i32 s9, s24, s14
	s_lshl_b64 s[16:17], s[4:5], 4
	s_lshl_b64 s[26:27], s[8:9], 4
	s_add_u32 s1, s30, s16
	s_addc_u32 s9, s31, s17
	s_add_u32 s1, s1, s26
	s_delay_alu instid0(VALU_DEP_1) | instskip(SKIP_2) | instid1(VALU_DEP_1)
	v_mov_b32_e32 v2, v5
	s_addc_u32 s9, s9, s27
	s_lshl_b64 s[16:17], s[6:7], 14
	v_mad_u64_u32 v[5:6], null, s7, v0, v[2:3]
	v_dual_mov_b32 v2, 0 :: v_dual_mov_b32 v7, v1
	v_dual_mov_b32 v3, 0 :: v_dual_mov_b32 v6, v0
	s_delay_alu instid0(VALU_DEP_3) | instskip(NEXT) | instid1(VALU_DEP_1)
	v_lshlrev_b64 v[4:5], 4, v[4:5]
	v_add_co_u32 v8, vcc_lo, s1, v4
	s_delay_alu instid0(VALU_DEP_2) | instskip(NEXT) | instid1(VALU_DEP_4)
	v_add_co_ci_u32_e32 v9, vcc_lo, s9, v5, vcc_lo
	v_dual_mov_b32 v5, v3 :: v_dual_mov_b32 v4, v2
	s_mov_b32 s9, 0
	.p2align	6
.LBB14_4:                               ; =>This Inner Loop Header: Depth=1
	global_load_b128 v[10:13], v[8:9], off
	v_add_co_u32 v6, vcc_lo, 0x400, v6
	v_add_co_ci_u32_e32 v7, vcc_lo, 0, v7, vcc_lo
	v_add_co_u32 v8, s1, v8, s16
	s_delay_alu instid0(VALU_DEP_1) | instskip(NEXT) | instid1(VALU_DEP_3)
	v_add_co_ci_u32_e64 v9, s1, s17, v9, s1
	v_cmp_le_i64_e32 vcc_lo, s[12:13], v[6:7]
	s_or_b32 s9, vcc_lo, s9
	s_waitcnt vmcnt(0)
	v_mul_f64 v[14:15], v[12:13], v[12:13]
	v_mul_f64 v[16:17], v[10:11], v[12:13]
	s_delay_alu instid0(VALU_DEP_2) | instskip(NEXT) | instid1(VALU_DEP_2)
	v_fma_f64 v[14:15], v[10:11], v[10:11], v[14:15]
	v_fma_f64 v[10:11], v[10:11], v[12:13], -v[16:17]
	s_delay_alu instid0(VALU_DEP_2) | instskip(NEXT) | instid1(VALU_DEP_2)
	v_add_f64 v[4:5], v[4:5], v[14:15]
	v_add_f64 v[2:3], v[2:3], v[10:11]
	s_and_not1_b32 exec_lo, exec_lo, s9
	s_cbranch_execnz .LBB14_4
; %bb.5:
	s_or_b32 exec_lo, exec_lo, s9
.LBB14_6:
	s_delay_alu instid0(SALU_CYCLE_1) | instskip(SKIP_2) | instid1(VALU_DEP_1)
	s_or_b32 exec_lo, exec_lo, s25
	v_mbcnt_lo_u32_b32 v10, -1, 0
	s_mov_b32 s1, exec_lo
	v_cmp_ne_u32_e32 vcc_lo, 31, v10
	v_add_co_ci_u32_e32 v6, vcc_lo, 0, v10, vcc_lo
	v_cmp_gt_u32_e32 vcc_lo, 30, v10
	s_delay_alu instid0(VALU_DEP_2)
	v_lshlrev_b32_e32 v9, 2, v6
	ds_bpermute_b32 v6, v9, v4
	ds_bpermute_b32 v7, v9, v5
	ds_bpermute_b32 v8, v9, v2
	ds_bpermute_b32 v9, v9, v3
	s_waitcnt lgkmcnt(2)
	v_add_f64 v[4:5], v[4:5], v[6:7]
	v_cndmask_b32_e64 v6, 0, 1, vcc_lo
	s_waitcnt lgkmcnt(0)
	v_add_f64 v[2:3], v[2:3], v[8:9]
	v_cmp_gt_u32_e32 vcc_lo, 28, v10
	s_delay_alu instid0(VALU_DEP_3) | instskip(NEXT) | instid1(VALU_DEP_1)
	v_lshlrev_b32_e32 v6, 1, v6
	v_add_lshl_u32 v9, v6, v10, 2
	ds_bpermute_b32 v6, v9, v4
	ds_bpermute_b32 v7, v9, v5
	ds_bpermute_b32 v8, v9, v2
	ds_bpermute_b32 v9, v9, v3
	s_waitcnt lgkmcnt(2)
	v_add_f64 v[4:5], v[4:5], v[6:7]
	v_cndmask_b32_e64 v6, 0, 1, vcc_lo
	s_waitcnt lgkmcnt(0)
	v_add_f64 v[2:3], v[2:3], v[8:9]
	v_cmp_gt_u32_e32 vcc_lo, 24, v10
	s_delay_alu instid0(VALU_DEP_3) | instskip(NEXT) | instid1(VALU_DEP_1)
	v_lshlrev_b32_e32 v6, 2, v6
	v_add_lshl_u32 v9, v6, v10, 2
	;; [unrolled: 13-line block ×3, first 2 shown]
	ds_bpermute_b32 v6, v9, v4
	ds_bpermute_b32 v7, v9, v5
	;; [unrolled: 1-line block ×4, first 2 shown]
	s_waitcnt lgkmcnt(2)
	v_add_f64 v[4:5], v[4:5], v[6:7]
	s_waitcnt lgkmcnt(0)
	v_add_f64 v[6:7], v[2:3], v[8:9]
	v_cndmask_b32_e64 v2, 0, 1, vcc_lo
	s_delay_alu instid0(VALU_DEP_1) | instskip(NEXT) | instid1(VALU_DEP_1)
	v_lshlrev_b32_e32 v2, 4, v2
	v_add_lshl_u32 v9, v2, v10, 2
	ds_bpermute_b32 v2, v9, v4
	ds_bpermute_b32 v3, v9, v5
	;; [unrolled: 1-line block ×4, first 2 shown]
	s_waitcnt lgkmcnt(2)
	v_add_f64 v[2:3], v[4:5], v[2:3]
	s_waitcnt lgkmcnt(0)
	v_add_f64 v[4:5], v[6:7], v[8:9]
	v_dual_mov_b32 v7, 0 :: v_dual_and_b32 v6, 31, v0
	s_delay_alu instid0(VALU_DEP_1)
	v_cmpx_eq_u64_e32 0, v[6:7]
	s_cbranch_execz .LBB14_8
; %bb.7:
	v_lshrrev_b32_e32 v6, 1, v0
	s_delay_alu instid0(VALU_DEP_1)
	v_and_b32_e32 v6, 0x1f0, v6
	ds_store_b128 v6, v[2:5]
.LBB14_8:
	s_or_b32 exec_lo, exec_lo, s1
	v_cmp_eq_u32_e32 vcc_lo, 0, v0
	s_waitcnt lgkmcnt(0)
	s_barrier
	buffer_gl0_inv
	s_and_saveexec_b32 s1, vcc_lo
	s_cbranch_execz .LBB14_10
; %bb.9:
	v_mov_b32_e32 v14, 0
	ds_load_b128 v[6:9], v14 offset:16
	ds_load_b128 v[10:13], v14 offset:32
	s_waitcnt lgkmcnt(1)
	v_add_f64 v[2:3], v[2:3], v[6:7]
	v_add_f64 v[4:5], v[4:5], v[8:9]
	s_waitcnt lgkmcnt(0)
	s_delay_alu instid0(VALU_DEP_2) | instskip(NEXT) | instid1(VALU_DEP_2)
	v_add_f64 v[10:11], v[2:3], v[10:11]
	v_add_f64 v[12:13], v[4:5], v[12:13]
	ds_load_b128 v[2:5], v14 offset:48
	ds_load_b128 v[6:9], v14 offset:64
	s_waitcnt lgkmcnt(1)
	v_add_f64 v[2:3], v[10:11], v[2:3]
	v_add_f64 v[4:5], v[12:13], v[4:5]
	s_waitcnt lgkmcnt(0)
	s_delay_alu instid0(VALU_DEP_2) | instskip(NEXT) | instid1(VALU_DEP_2)
	v_add_f64 v[10:11], v[2:3], v[6:7]
	v_add_f64 v[12:13], v[4:5], v[8:9]
	;; [unrolled: 9-line block ×15, first 2 shown]
	ds_load_b128 v[2:5], v14 offset:496
	s_waitcnt lgkmcnt(0)
	v_add_f64 v[2:3], v[6:7], v[2:3]
	v_add_f64 v[4:5], v[8:9], v[4:5]
	ds_store_b128 v14, v[2:5]
.LBB14_10:
	s_or_b32 exec_lo, exec_lo, s1
	s_waitcnt lgkmcnt(0)
	s_barrier
	buffer_gl0_inv
	s_and_saveexec_b32 s9, vcc_lo
	s_cbranch_execz .LBB14_20
; %bb.11:
	s_mul_i32 s1, s15, s23
	s_mul_hi_u32 s17, s15, s22
	s_mul_i32 s16, s15, s22
	s_add_i32 s17, s17, s1
	v_mov_b32_e32 v2, 0
	s_lshl_b64 s[16:17], s[16:17], 4
	s_delay_alu instid0(SALU_CYCLE_1)
	s_add_u32 s1, s18, s16
	s_addc_u32 s18, s19, s17
	s_lshl_b64 s[16:17], s[20:21], 4
	ds_load_b64 v[8:9], v2
	s_add_u32 s16, s1, s16
	s_addc_u32 s17, s18, s17
	s_mul_i32 s1, s15, s3
	s_load_b64 s[18:19], s[16:17], 0x8
	s_mul_hi_u32 s3, s15, s2
	s_mul_i32 s2, s15, s2
	s_add_i32 s3, s3, s1
	s_mov_b32 s1, 0
	s_lshl_b64 s[2:3], s[2:3], 4
	s_delay_alu instid0(SALU_CYCLE_1)
	s_add_u32 s10, s10, s2
	s_addc_u32 s11, s11, s3
	s_cmp_eq_u64 s[34:35], 0
	s_cselect_b32 s15, -1, 0
	s_cmp_lg_u64 s[34:35], 0
	s_cselect_b32 s20, -1, 0
	s_waitcnt lgkmcnt(0)
	v_max_f64 v[3:4], v[8:9], v[8:9]
	v_mul_f64 v[6:7], s[18:19], s[18:19]
	s_delay_alu instid0(VALU_DEP_1) | instskip(NEXT) | instid1(VALU_DEP_1)
	v_max_f64 v[3:4], v[3:4], v[6:7]
	v_cmp_nlt_f64_e32 vcc_lo, 0, v[3:4]
	s_cbranch_vccz .LBB14_14
; %bb.12:
	v_dual_mov_b32 v3, 0x3ff00000 :: v_dual_mov_b32 v4, v2
	v_mov_b32_e32 v5, v2
	s_mov_b32 s3, 0
	s_and_b32 vcc_lo, exec_lo, s20
	ds_store_b128 v2, v[2:5]
	v_mov_b32_e32 v3, v2
	global_store_b128 v2, v[2:5], s[10:11]
                                        ; implicit-def: $vgpr4_vgpr5
	s_cbranch_vccz .LBB14_15
; %bb.13:
	v_mov_b32_e32 v2, 0
	s_mov_b32 s2, -1
	global_load_b64 v[2:3], v2, s[16:17]
	s_and_b32 vcc_lo, exec_lo, s3
	s_cbranch_vccnz .LBB14_16
	s_branch .LBB14_17
.LBB14_14:
	s_mov_b32 s3, -1
.LBB14_15:
	s_mov_b32 s2, 0
                                        ; implicit-def: $vgpr2_vgpr3
	s_and_b32 vcc_lo, exec_lo, s3
	s_cbranch_vccz .LBB14_17
.LBB14_16:
	s_load_b64 s[2:3], s[16:17], 0x0
	s_waitcnt vmcnt(0) lgkmcnt(0)
	v_fma_f64 v[2:3], s[2:3], s[2:3], v[6:7]
	s_delay_alu instid0(VALU_DEP_1) | instskip(NEXT) | instid1(VALU_DEP_1)
	v_add_f64 v[2:3], v[8:9], v[2:3]
	v_cmp_gt_f64_e32 vcc_lo, 0x10000000, v[2:3]
	v_cndmask_b32_e64 v4, 0, 1, vcc_lo
	s_and_b32 s1, vcc_lo, exec_lo
	s_cselect_b32 s1, 0xffffff80, 0
	s_delay_alu instid0(VALU_DEP_1) | instskip(NEXT) | instid1(VALU_DEP_1)
	v_lshlrev_b32_e32 v4, 8, v4
	v_ldexp_f64 v[2:3], v[2:3], v4
	s_delay_alu instid0(VALU_DEP_1) | instskip(SKIP_4) | instid1(VALU_DEP_1)
	v_rsq_f64_e32 v[4:5], v[2:3]
	v_cmp_class_f64_e64 vcc_lo, v[2:3], 0x260
	s_waitcnt_depctr 0xfff
	v_mul_f64 v[8:9], v[2:3], v[4:5]
	v_mul_f64 v[4:5], v[4:5], 0.5
	v_fma_f64 v[10:11], -v[4:5], v[8:9], 0.5
	s_delay_alu instid0(VALU_DEP_1) | instskip(SKIP_1) | instid1(VALU_DEP_2)
	v_fma_f64 v[8:9], v[8:9], v[10:11], v[8:9]
	v_fma_f64 v[4:5], v[4:5], v[10:11], v[4:5]
	v_fma_f64 v[10:11], -v[8:9], v[8:9], v[2:3]
	s_delay_alu instid0(VALU_DEP_1) | instskip(NEXT) | instid1(VALU_DEP_1)
	v_fma_f64 v[8:9], v[10:11], v[4:5], v[8:9]
	v_fma_f64 v[10:11], -v[8:9], v[8:9], v[2:3]
	s_delay_alu instid0(VALU_DEP_1) | instskip(NEXT) | instid1(VALU_DEP_1)
	v_fma_f64 v[4:5], v[10:11], v[4:5], v[8:9]
	v_ldexp_f64 v[4:5], v[4:5], s1
	s_delay_alu instid0(VALU_DEP_1) | instskip(SKIP_1) | instid1(VALU_DEP_2)
	v_dual_cndmask_b32 v3, v5, v3 :: v_dual_cndmask_b32 v2, v4, v2
	v_cmp_ge_f64_e64 vcc_lo, s[2:3], 0
	v_xor_b32_e32 v4, 0x80000000, v3
	s_delay_alu instid0(VALU_DEP_1) | instskip(NEXT) | instid1(VALU_DEP_1)
	v_cndmask_b32_e32 v3, v3, v4, vcc_lo
	v_add_f64 v[4:5], s[2:3], -v[2:3]
	v_add_f64 v[8:9], v[2:3], -s[2:3]
	v_div_scale_f64 v[16:17], null, v[2:3], v[2:3], -s[18:19]
	s_delay_alu instid0(VALU_DEP_3) | instskip(NEXT) | instid1(VALU_DEP_3)
	v_fma_f64 v[6:7], v[4:5], v[4:5], v[6:7]
	v_div_scale_f64 v[14:15], null, v[2:3], v[2:3], v[8:9]
	s_delay_alu instid0(VALU_DEP_3) | instskip(NEXT) | instid1(VALU_DEP_2)
	v_rcp_f64_e32 v[24:25], v[16:17]
	v_div_scale_f64 v[10:11], null, v[6:7], v[6:7], v[4:5]
	v_div_scale_f64 v[12:13], null, v[6:7], v[6:7], -s[18:19]
	s_delay_alu instid0(VALU_DEP_3)
	v_rcp_f64_e32 v[22:23], v[14:15]
	s_waitcnt_depctr 0xfff
	v_fma_f64 v[32:33], -v[16:17], v[24:25], 1.0
	v_div_scale_f64 v[34:35], vcc_lo, v[4:5], v[6:7], v[4:5]
	v_rcp_f64_e32 v[18:19], v[10:11]
	v_rcp_f64_e32 v[20:21], v[12:13]
	s_delay_alu instid0(VALU_DEP_2)
	v_fma_f64 v[24:25], v[24:25], v[32:33], v[24:25]
	v_fma_f64 v[30:31], -v[14:15], v[22:23], 1.0
	s_waitcnt_depctr 0xfff
	v_fma_f64 v[26:27], -v[10:11], v[18:19], 1.0
	v_fma_f64 v[28:29], -v[12:13], v[20:21], 1.0
	v_fma_f64 v[32:33], -v[16:17], v[24:25], 1.0
	v_fma_f64 v[22:23], v[22:23], v[30:31], v[22:23]
	s_delay_alu instid0(VALU_DEP_4) | instskip(NEXT) | instid1(VALU_DEP_4)
	v_fma_f64 v[18:19], v[18:19], v[26:27], v[18:19]
	v_fma_f64 v[20:21], v[20:21], v[28:29], v[20:21]
	s_delay_alu instid0(VALU_DEP_4) | instskip(NEXT) | instid1(VALU_DEP_4)
	v_fma_f64 v[24:25], v[24:25], v[32:33], v[24:25]
	v_fma_f64 v[30:31], -v[14:15], v[22:23], 1.0
	s_delay_alu instid0(VALU_DEP_4) | instskip(NEXT) | instid1(VALU_DEP_4)
	v_fma_f64 v[26:27], -v[10:11], v[18:19], 1.0
	v_fma_f64 v[28:29], -v[12:13], v[20:21], 1.0
	s_delay_alu instid0(VALU_DEP_3) | instskip(SKIP_1) | instid1(VALU_DEP_4)
	v_fma_f64 v[22:23], v[22:23], v[30:31], v[22:23]
	v_div_scale_f64 v[30:31], s3, -s[18:19], v[2:3], -s[18:19]
	v_fma_f64 v[18:19], v[18:19], v[26:27], v[18:19]
	v_div_scale_f64 v[26:27], s1, -s[18:19], v[6:7], -s[18:19]
	v_fma_f64 v[20:21], v[20:21], v[28:29], v[20:21]
	v_div_scale_f64 v[28:29], s2, v[8:9], v[2:3], v[8:9]
	v_mul_f64 v[40:41], v[30:31], v[24:25]
	v_mul_f64 v[32:33], v[34:35], v[18:19]
	s_delay_alu instid0(VALU_DEP_4) | instskip(NEXT) | instid1(VALU_DEP_4)
	v_mul_f64 v[36:37], v[26:27], v[20:21]
	v_mul_f64 v[38:39], v[28:29], v[22:23]
	s_delay_alu instid0(VALU_DEP_4) | instskip(NEXT) | instid1(VALU_DEP_4)
	v_fma_f64 v[16:17], -v[16:17], v[40:41], v[30:31]
	v_fma_f64 v[10:11], -v[10:11], v[32:33], v[34:35]
	s_delay_alu instid0(VALU_DEP_4) | instskip(NEXT) | instid1(VALU_DEP_4)
	v_fma_f64 v[12:13], -v[12:13], v[36:37], v[26:27]
	v_fma_f64 v[14:15], -v[14:15], v[38:39], v[28:29]
	s_delay_alu instid0(VALU_DEP_3) | instskip(SKIP_2) | instid1(VALU_DEP_3)
	v_div_fmas_f64 v[10:11], v[10:11], v[18:19], v[32:33]
	s_mov_b32 vcc_lo, s1
	s_mov_b32 s1, s15
	v_div_fmas_f64 v[12:13], v[12:13], v[20:21], v[36:37]
	s_mov_b32 vcc_lo, s2
	s_mov_b32 s2, s20
	s_delay_alu instid0(VALU_DEP_3) | instskip(SKIP_2) | instid1(VALU_DEP_4)
	v_div_fmas_f64 v[14:15], v[14:15], v[22:23], v[38:39]
	s_mov_b32 vcc_lo, s3
	v_div_fmas_f64 v[16:17], v[16:17], v[24:25], v[40:41]
	v_div_fixup_f64 v[4:5], v[10:11], v[6:7], v[4:5]
	s_delay_alu instid0(VALU_DEP_4)
	v_div_fixup_f64 v[6:7], v[12:13], v[6:7], -s[18:19]
	v_mov_b32_e32 v12, 0
	v_div_fixup_f64 v[8:9], v[14:15], v[2:3], v[8:9]
	v_div_fixup_f64 v[10:11], v[16:17], v[2:3], -s[18:19]
	ds_store_b128 v12, v[4:7]
	global_store_b128 v12, v[8:11], s[10:11]
.LBB14_17:
	s_and_not1_b32 vcc_lo, exec_lo, s2
	s_cbranch_vccz .LBB14_24
; %bb.18:
	s_and_not1_b32 vcc_lo, exec_lo, s1
	s_cbranch_vccnz .LBB14_20
.LBB14_19:
	v_mov_b32_e32 v4, 0
	s_delay_alu instid0(VALU_DEP_1)
	v_mov_b32_e32 v5, v4
	s_waitcnt vmcnt(0) lgkmcnt(0)
	global_store_b128 v4, v[2:5], s[16:17]
.LBB14_20:
	s_or_b32 exec_lo, exec_lo, s9
	s_waitcnt vmcnt(0) lgkmcnt(0)
	s_waitcnt_vscnt null, 0x0
	s_barrier
	buffer_gl0_inv
	s_and_saveexec_b32 s1, s0
	s_cbranch_execz .LBB14_23
; %bb.21:
	v_mad_u64_u32 v[6:7], null, s6, v0, 0
	s_add_i32 s9, s24, s14
	s_lshl_b64 s[0:1], s[4:5], 4
	s_lshl_b64 s[2:3], s[8:9], 4
	s_add_u32 s0, s30, s0
	s_addc_u32 s1, s31, s1
	s_add_u32 s0, s0, s2
	s_delay_alu instid0(VALU_DEP_1) | instskip(SKIP_2) | instid1(VALU_DEP_1)
	v_mov_b32_e32 v2, v7
	s_addc_u32 s1, s1, s3
	s_lshl_b64 s[2:3], s[6:7], 14
	v_mad_u64_u32 v[3:4], null, s7, v0, v[2:3]
	s_delay_alu instid0(VALU_DEP_1) | instskip(SKIP_2) | instid1(VALU_DEP_1)
	v_dual_mov_b32 v2, 0 :: v_dual_mov_b32 v7, v3
	ds_load_b128 v[2:5], v2
	v_lshlrev_b64 v[6:7], 4, v[6:7]
	v_add_co_u32 v6, vcc_lo, s0, v6
	s_delay_alu instid0(VALU_DEP_2) | instskip(SKIP_1) | instid1(VALU_DEP_2)
	v_add_co_ci_u32_e32 v7, vcc_lo, s1, v7, vcc_lo
	s_mov_b32 s1, 0
	v_add_co_u32 v6, vcc_lo, v6, 8
	s_delay_alu instid0(VALU_DEP_2)
	v_add_co_ci_u32_e32 v7, vcc_lo, 0, v7, vcc_lo
	.p2align	6
.LBB14_22:                              ; =>This Inner Loop Header: Depth=1
	global_load_b128 v[8:11], v[6:7], off offset:-8
	v_add_co_u32 v0, vcc_lo, 0x400, v0
	v_add_co_ci_u32_e32 v1, vcc_lo, 0, v1, vcc_lo
	s_delay_alu instid0(VALU_DEP_1) | instskip(SKIP_4) | instid1(VALU_DEP_2)
	v_cmp_le_i64_e32 vcc_lo, s[12:13], v[0:1]
	s_or_b32 s1, vcc_lo, s1
	s_waitcnt vmcnt(0) lgkmcnt(0)
	v_mul_f64 v[12:13], v[4:5], v[10:11]
	v_mul_f64 v[14:15], v[2:3], v[10:11]
	v_fma_f64 v[10:11], v[2:3], v[8:9], -v[12:13]
	s_delay_alu instid0(VALU_DEP_2) | instskip(SKIP_2) | instid1(VALU_DEP_1)
	v_fma_f64 v[12:13], v[4:5], v[8:9], v[14:15]
	global_store_b128 v[6:7], v[10:13], off offset:-8
	v_add_co_u32 v6, s0, v6, s2
	v_add_co_ci_u32_e64 v7, s0, s3, v7, s0
	s_and_not1_b32 exec_lo, exec_lo, s1
	s_cbranch_execnz .LBB14_22
.LBB14_23:
	s_nop 0
	s_sendmsg sendmsg(MSG_DEALLOC_VGPRS)
	s_endpgm
.LBB14_24:
	v_dual_mov_b32 v4, s34 :: v_dual_mov_b32 v5, s35
	s_waitcnt vmcnt(0)
	flat_store_b64 v[4:5], v[2:3]
	v_mov_b32_e32 v2, 0
	v_mov_b32_e32 v3, 0x3ff00000
	s_branch .LBB14_19
	.section	.rodata,"a",@progbits
	.p2align	6, 0x0
	.amdhsa_kernel _ZN9rocsolver6v33100L18larfg_kernel_smallILi1024E19rocblas_complex_numIdEldPS3_EEvT1_T3_llPT2_llS6_lS5_lPT0_l
		.amdhsa_group_segment_fixed_size 512
		.amdhsa_private_segment_fixed_size 0
		.amdhsa_kernarg_size 104
		.amdhsa_user_sgpr_count 14
		.amdhsa_user_sgpr_dispatch_ptr 0
		.amdhsa_user_sgpr_queue_ptr 0
		.amdhsa_user_sgpr_kernarg_segment_ptr 1
		.amdhsa_user_sgpr_dispatch_id 0
		.amdhsa_user_sgpr_private_segment_size 0
		.amdhsa_wavefront_size32 1
		.amdhsa_uses_dynamic_stack 0
		.amdhsa_enable_private_segment 0
		.amdhsa_system_sgpr_workgroup_id_x 1
		.amdhsa_system_sgpr_workgroup_id_y 0
		.amdhsa_system_sgpr_workgroup_id_z 1
		.amdhsa_system_sgpr_workgroup_info 0
		.amdhsa_system_vgpr_workitem_id 0
		.amdhsa_next_free_vgpr 42
		.amdhsa_next_free_sgpr 36
		.amdhsa_reserve_vcc 1
		.amdhsa_float_round_mode_32 0
		.amdhsa_float_round_mode_16_64 0
		.amdhsa_float_denorm_mode_32 3
		.amdhsa_float_denorm_mode_16_64 3
		.amdhsa_dx10_clamp 1
		.amdhsa_ieee_mode 1
		.amdhsa_fp16_overflow 0
		.amdhsa_workgroup_processor_mode 1
		.amdhsa_memory_ordered 1
		.amdhsa_forward_progress 0
		.amdhsa_shared_vgpr_count 0
		.amdhsa_exception_fp_ieee_invalid_op 0
		.amdhsa_exception_fp_denorm_src 0
		.amdhsa_exception_fp_ieee_div_zero 0
		.amdhsa_exception_fp_ieee_overflow 0
		.amdhsa_exception_fp_ieee_underflow 0
		.amdhsa_exception_fp_ieee_inexact 0
		.amdhsa_exception_int_div_zero 0
	.end_amdhsa_kernel
	.section	.text._ZN9rocsolver6v33100L18larfg_kernel_smallILi1024E19rocblas_complex_numIdEldPS3_EEvT1_T3_llPT2_llS6_lS5_lPT0_l,"axG",@progbits,_ZN9rocsolver6v33100L18larfg_kernel_smallILi1024E19rocblas_complex_numIdEldPS3_EEvT1_T3_llPT2_llS6_lS5_lPT0_l,comdat
.Lfunc_end14:
	.size	_ZN9rocsolver6v33100L18larfg_kernel_smallILi1024E19rocblas_complex_numIdEldPS3_EEvT1_T3_llPT2_llS6_lS5_lPT0_l, .Lfunc_end14-_ZN9rocsolver6v33100L18larfg_kernel_smallILi1024E19rocblas_complex_numIdEldPS3_EEvT1_T3_llPT2_llS6_lS5_lPT0_l
                                        ; -- End function
	.section	.AMDGPU.csdata,"",@progbits
; Kernel info:
; codeLenInByte = 3156
; NumSgprs: 38
; NumVgprs: 42
; ScratchSize: 0
; MemoryBound: 0
; FloatMode: 240
; IeeeMode: 1
; LDSByteSize: 512 bytes/workgroup (compile time only)
; SGPRBlocks: 4
; VGPRBlocks: 5
; NumSGPRsForWavesPerEU: 38
; NumVGPRsForWavesPerEU: 42
; Occupancy: 16
; WaveLimiterHint : 0
; COMPUTE_PGM_RSRC2:SCRATCH_EN: 0
; COMPUTE_PGM_RSRC2:USER_SGPR: 14
; COMPUTE_PGM_RSRC2:TRAP_HANDLER: 0
; COMPUTE_PGM_RSRC2:TGID_X_EN: 1
; COMPUTE_PGM_RSRC2:TGID_Y_EN: 0
; COMPUTE_PGM_RSRC2:TGID_Z_EN: 1
; COMPUTE_PGM_RSRC2:TIDIG_COMP_CNT: 0
	.section	.text._ZN9rocsolver6v33100L18larfg_kernel_smallILi64E19rocblas_complex_numIdEldPKPS3_EEvT1_T3_llPT2_llS8_lS7_lPT0_l,"axG",@progbits,_ZN9rocsolver6v33100L18larfg_kernel_smallILi64E19rocblas_complex_numIdEldPKPS3_EEvT1_T3_llPT2_llS8_lS7_lPT0_l,comdat
	.globl	_ZN9rocsolver6v33100L18larfg_kernel_smallILi64E19rocblas_complex_numIdEldPKPS3_EEvT1_T3_llPT2_llS8_lS7_lPT0_l ; -- Begin function _ZN9rocsolver6v33100L18larfg_kernel_smallILi64E19rocblas_complex_numIdEldPKPS3_EEvT1_T3_llPT2_llS8_lS7_lPT0_l
	.p2align	8
	.type	_ZN9rocsolver6v33100L18larfg_kernel_smallILi64E19rocblas_complex_numIdEldPKPS3_EEvT1_T3_llPT2_llS8_lS7_lPT0_l,@function
_ZN9rocsolver6v33100L18larfg_kernel_smallILi64E19rocblas_complex_numIdEldPKPS3_EEvT1_T3_llPT2_llS8_lS7_lPT0_l: ; @_ZN9rocsolver6v33100L18larfg_kernel_smallILi64E19rocblas_complex_numIdEldPKPS3_EEvT1_T3_llPT2_llS8_lS7_lPT0_l
; %bb.0:
	s_clause 0x1
	s_load_b128 s[16:19], s[0:1], 0x0
	s_load_b256 s[4:11], s[0:1], 0x20
	s_mov_b32 s20, s15
	s_mov_b32 s21, 0
	s_load_b64 s[22:23], s[0:1], 0x10
	s_lshl_b64 s[12:13], s[20:21], 3
	s_waitcnt lgkmcnt(0)
	s_add_u32 s2, s18, s12
	s_addc_u32 s3, s19, s13
	s_add_u32 s10, s10, s12
	s_addc_u32 s11, s11, s13
	s_load_b128 s[12:15], s[0:1], 0x40
	s_load_b64 s[10:11], s[10:11], 0x0
	s_cmp_eq_u64 s[4:5], 0
	s_mov_b64 s[18:19], 0
	s_cbranch_scc1 .LBB15_2
; %bb.1:
	s_mul_i32 s9, s20, s9
	s_mul_hi_u32 s18, s20, s8
	s_mul_i32 s8, s20, s8
	s_add_i32 s9, s18, s9
	s_delay_alu instid0(SALU_CYCLE_1) | instskip(NEXT) | instid1(SALU_CYCLE_1)
	s_lshl_b64 s[8:9], s[8:9], 3
	s_add_u32 s8, s4, s8
	s_addc_u32 s9, s5, s9
	s_lshl_b64 s[4:5], s[6:7], 3
	s_delay_alu instid0(SALU_CYCLE_1)
	s_add_u32 s18, s8, s4
	s_addc_u32 s19, s9, s5
.LBB15_2:
	s_load_b64 s[6:7], s[2:3], 0x0
	v_dual_mov_b32 v1, 0 :: v_dual_mov_b32 v2, 0
	v_mov_b32_e32 v3, 0
	s_add_u32 s4, s16, -1
	s_addc_u32 s5, s17, -1
	s_delay_alu instid0(VALU_DEP_2) | instid1(SALU_CYCLE_1)
	v_cmp_gt_i64_e64 s2, s[4:5], v[0:1]
	s_delay_alu instid0(VALU_DEP_2) | instskip(NEXT) | instid1(VALU_DEP_2)
	v_dual_mov_b32 v5, v3 :: v_dual_mov_b32 v4, v2
	s_and_saveexec_b32 s16, s2
	s_cbranch_execz .LBB15_6
; %bb.3:
	s_waitcnt lgkmcnt(0)
	v_mad_u64_u32 v[2:3], null, s14, v0, 0
	s_lshl_b64 s[8:9], s[12:13], 4
	s_mov_b32 s17, 0
	s_add_u32 s3, s10, s8
	s_addc_u32 s8, s11, s9
	v_dual_mov_b32 v7, v1 :: v_dual_mov_b32 v6, v0
	s_delay_alu instid0(VALU_DEP_2) | instskip(NEXT) | instid1(VALU_DEP_1)
	v_mad_u64_u32 v[4:5], null, s15, v0, v[3:4]
	v_mov_b32_e32 v3, v4
	s_delay_alu instid0(VALU_DEP_1) | instskip(SKIP_2) | instid1(VALU_DEP_3)
	v_lshlrev_b64 v[4:5], 4, v[2:3]
	v_mov_b32_e32 v2, 0
	v_mov_b32_e32 v3, 0
	v_add_co_u32 v8, vcc_lo, s3, v4
	s_delay_alu instid0(VALU_DEP_4) | instskip(NEXT) | instid1(VALU_DEP_3)
	v_add_co_ci_u32_e32 v9, vcc_lo, s8, v5, vcc_lo
	v_dual_mov_b32 v5, v3 :: v_dual_mov_b32 v4, v2
	s_lshl_b64 s[8:9], s[14:15], 10
	.p2align	6
.LBB15_4:                               ; =>This Inner Loop Header: Depth=1
	global_load_b128 v[10:13], v[8:9], off
	v_add_co_u32 v6, vcc_lo, v6, 64
	v_add_co_ci_u32_e32 v7, vcc_lo, 0, v7, vcc_lo
	v_add_co_u32 v8, s3, v8, s8
	s_delay_alu instid0(VALU_DEP_1) | instskip(NEXT) | instid1(VALU_DEP_3)
	v_add_co_ci_u32_e64 v9, s3, s9, v9, s3
	v_cmp_le_i64_e32 vcc_lo, s[4:5], v[6:7]
	s_or_b32 s17, vcc_lo, s17
	s_waitcnt vmcnt(0)
	v_mul_f64 v[14:15], v[12:13], v[12:13]
	v_mul_f64 v[16:17], v[10:11], v[12:13]
	s_delay_alu instid0(VALU_DEP_2) | instskip(NEXT) | instid1(VALU_DEP_2)
	v_fma_f64 v[14:15], v[10:11], v[10:11], v[14:15]
	v_fma_f64 v[10:11], v[10:11], v[12:13], -v[16:17]
	s_delay_alu instid0(VALU_DEP_2) | instskip(NEXT) | instid1(VALU_DEP_2)
	v_add_f64 v[4:5], v[4:5], v[14:15]
	v_add_f64 v[2:3], v[2:3], v[10:11]
	s_and_not1_b32 exec_lo, exec_lo, s17
	s_cbranch_execnz .LBB15_4
; %bb.5:
	s_or_b32 exec_lo, exec_lo, s17
.LBB15_6:
	s_delay_alu instid0(SALU_CYCLE_1) | instskip(SKIP_2) | instid1(VALU_DEP_1)
	s_or_b32 exec_lo, exec_lo, s16
	v_mbcnt_lo_u32_b32 v10, -1, 0
	s_mov_b32 s3, exec_lo
	v_cmp_ne_u32_e32 vcc_lo, 31, v10
	v_add_co_ci_u32_e32 v6, vcc_lo, 0, v10, vcc_lo
	v_cmp_gt_u32_e32 vcc_lo, 30, v10
	s_delay_alu instid0(VALU_DEP_2)
	v_lshlrev_b32_e32 v9, 2, v6
	ds_bpermute_b32 v6, v9, v4
	ds_bpermute_b32 v7, v9, v5
	;; [unrolled: 1-line block ×4, first 2 shown]
	s_waitcnt lgkmcnt(0)
	v_add_f64 v[4:5], v[4:5], v[6:7]
	v_cndmask_b32_e64 v6, 0, 1, vcc_lo
	v_add_f64 v[2:3], v[2:3], v[8:9]
	v_cmp_gt_u32_e32 vcc_lo, 28, v10
	s_delay_alu instid0(VALU_DEP_3) | instskip(NEXT) | instid1(VALU_DEP_1)
	v_lshlrev_b32_e32 v6, 1, v6
	v_add_lshl_u32 v9, v6, v10, 2
	ds_bpermute_b32 v6, v9, v4
	ds_bpermute_b32 v7, v9, v5
	ds_bpermute_b32 v8, v9, v2
	ds_bpermute_b32 v9, v9, v3
	s_waitcnt lgkmcnt(2)
	v_add_f64 v[4:5], v[4:5], v[6:7]
	v_cndmask_b32_e64 v6, 0, 1, vcc_lo
	s_waitcnt lgkmcnt(0)
	v_add_f64 v[2:3], v[2:3], v[8:9]
	v_cmp_gt_u32_e32 vcc_lo, 24, v10
	s_delay_alu instid0(VALU_DEP_3) | instskip(NEXT) | instid1(VALU_DEP_1)
	v_lshlrev_b32_e32 v6, 2, v6
	v_add_lshl_u32 v9, v6, v10, 2
	ds_bpermute_b32 v6, v9, v4
	ds_bpermute_b32 v7, v9, v5
	;; [unrolled: 1-line block ×4, first 2 shown]
	s_waitcnt lgkmcnt(2)
	v_add_f64 v[4:5], v[4:5], v[6:7]
	v_cndmask_b32_e64 v6, 0, 1, vcc_lo
	s_waitcnt lgkmcnt(0)
	v_add_f64 v[2:3], v[2:3], v[8:9]
	v_cmp_gt_u32_e32 vcc_lo, 16, v10
	s_delay_alu instid0(VALU_DEP_3) | instskip(NEXT) | instid1(VALU_DEP_1)
	v_lshlrev_b32_e32 v6, 3, v6
	v_add_lshl_u32 v9, v6, v10, 2
	ds_bpermute_b32 v6, v9, v4
	ds_bpermute_b32 v7, v9, v5
	;; [unrolled: 1-line block ×4, first 2 shown]
	s_waitcnt lgkmcnt(2)
	v_add_f64 v[4:5], v[4:5], v[6:7]
	s_waitcnt lgkmcnt(0)
	v_add_f64 v[6:7], v[2:3], v[8:9]
	v_cndmask_b32_e64 v2, 0, 1, vcc_lo
	s_delay_alu instid0(VALU_DEP_1) | instskip(NEXT) | instid1(VALU_DEP_1)
	v_lshlrev_b32_e32 v2, 4, v2
	v_add_lshl_u32 v9, v2, v10, 2
	ds_bpermute_b32 v2, v9, v4
	ds_bpermute_b32 v3, v9, v5
	;; [unrolled: 1-line block ×4, first 2 shown]
	s_waitcnt lgkmcnt(2)
	v_add_f64 v[2:3], v[4:5], v[2:3]
	s_waitcnt lgkmcnt(0)
	v_add_f64 v[4:5], v[6:7], v[8:9]
	v_dual_mov_b32 v7, 0 :: v_dual_and_b32 v6, 31, v0
	s_delay_alu instid0(VALU_DEP_1)
	v_cmpx_eq_u64_e32 0, v[6:7]
	s_cbranch_execz .LBB15_8
; %bb.7:
	v_lshrrev_b32_e32 v6, 1, v0
	s_delay_alu instid0(VALU_DEP_1)
	v_and_b32_e32 v6, 16, v6
	ds_store_b128 v6, v[2:5]
.LBB15_8:
	s_or_b32 exec_lo, exec_lo, s3
	v_cmp_eq_u32_e32 vcc_lo, 0, v0
	s_waitcnt lgkmcnt(0)
	s_barrier
	buffer_gl0_inv
	s_and_saveexec_b32 s3, vcc_lo
	s_cbranch_execz .LBB15_10
; %bb.9:
	v_mov_b32_e32 v10, 0
	ds_load_b128 v[6:9], v10 offset:16
	s_waitcnt lgkmcnt(0)
	v_add_f64 v[2:3], v[2:3], v[6:7]
	v_add_f64 v[4:5], v[4:5], v[8:9]
	ds_store_b128 v10, v[2:5]
.LBB15_10:
	s_or_b32 exec_lo, exec_lo, s3
	s_waitcnt lgkmcnt(0)
	s_barrier
	buffer_gl0_inv
	s_and_saveexec_b32 s21, vcc_lo
	s_cbranch_execz .LBB15_20
; %bb.11:
	s_lshl_b64 s[8:9], s[22:23], 4
	v_mov_b32_e32 v2, 0
	s_add_u32 s6, s6, s8
	s_addc_u32 s7, s7, s9
	s_load_b128 s[24:27], s[0:1], 0x58
	s_load_b64 s[16:17], s[6:7], 0x8
	ds_load_b64 v[8:9], v2
	s_waitcnt lgkmcnt(0)
	s_mul_i32 s0, s20, s27
	v_mul_f64 v[6:7], s[16:17], s[16:17]
	v_max_f64 v[3:4], v[8:9], v[8:9]
	s_mul_hi_u32 s1, s20, s26
	s_delay_alu instid0(SALU_CYCLE_1) | instskip(SKIP_1) | instid1(SALU_CYCLE_1)
	s_add_i32 s1, s1, s0
	s_mul_i32 s0, s20, s26
	s_lshl_b64 s[0:1], s[0:1], 4
	s_delay_alu instid0(SALU_CYCLE_1)
	s_add_u32 s8, s24, s0
	s_addc_u32 s9, s25, s1
	s_cmp_eq_u64 s[18:19], 0
	s_mov_b32 s0, 0
	s_cselect_b32 s20, -1, 0
	s_cmp_lg_u64 s[18:19], 0
	s_cselect_b32 s22, -1, 0
	s_delay_alu instid0(VALU_DEP_1) | instskip(NEXT) | instid1(VALU_DEP_1)
	v_max_f64 v[3:4], v[3:4], v[6:7]
	v_cmp_nlt_f64_e32 vcc_lo, 0, v[3:4]
	s_cbranch_vccz .LBB15_14
; %bb.12:
	v_dual_mov_b32 v3, 0x3ff00000 :: v_dual_mov_b32 v4, v2
	v_mov_b32_e32 v5, v2
	s_mov_b32 s3, 0
	s_and_b32 vcc_lo, exec_lo, s22
	ds_store_b128 v2, v[2:5]
	v_mov_b32_e32 v3, v2
	global_store_b128 v2, v[2:5], s[8:9]
                                        ; implicit-def: $vgpr4_vgpr5
	s_cbranch_vccz .LBB15_15
; %bb.13:
	v_mov_b32_e32 v2, 0
	s_mov_b32 s1, -1
	global_load_b64 v[2:3], v2, s[6:7]
	s_and_b32 vcc_lo, exec_lo, s3
	s_cbranch_vccnz .LBB15_16
	s_branch .LBB15_17
.LBB15_14:
	s_mov_b32 s3, -1
.LBB15_15:
	s_mov_b32 s1, 0
                                        ; implicit-def: $vgpr2_vgpr3
	s_and_b32 vcc_lo, exec_lo, s3
	s_cbranch_vccz .LBB15_17
.LBB15_16:
	v_mov_b32_e32 v42, 0
	global_load_b64 v[4:5], v42, s[6:7]
	s_waitcnt vmcnt(0)
	v_fma_f64 v[2:3], v[4:5], v[4:5], v[6:7]
	s_delay_alu instid0(VALU_DEP_1) | instskip(NEXT) | instid1(VALU_DEP_1)
	v_add_f64 v[2:3], v[8:9], v[2:3]
	v_cmp_gt_f64_e32 vcc_lo, 0x10000000, v[2:3]
	v_cndmask_b32_e64 v8, 0, 1, vcc_lo
	s_and_b32 s0, vcc_lo, exec_lo
	s_cselect_b32 s0, 0xffffff80, 0
	s_delay_alu instid0(VALU_DEP_1) | instskip(NEXT) | instid1(VALU_DEP_1)
	v_lshlrev_b32_e32 v8, 8, v8
	v_ldexp_f64 v[2:3], v[2:3], v8
	s_delay_alu instid0(VALU_DEP_1) | instskip(SKIP_4) | instid1(VALU_DEP_1)
	v_rsq_f64_e32 v[8:9], v[2:3]
	v_cmp_class_f64_e64 vcc_lo, v[2:3], 0x260
	s_waitcnt_depctr 0xfff
	v_mul_f64 v[10:11], v[2:3], v[8:9]
	v_mul_f64 v[8:9], v[8:9], 0.5
	v_fma_f64 v[12:13], -v[8:9], v[10:11], 0.5
	s_delay_alu instid0(VALU_DEP_1) | instskip(SKIP_1) | instid1(VALU_DEP_2)
	v_fma_f64 v[10:11], v[10:11], v[12:13], v[10:11]
	v_fma_f64 v[8:9], v[8:9], v[12:13], v[8:9]
	v_fma_f64 v[12:13], -v[10:11], v[10:11], v[2:3]
	s_delay_alu instid0(VALU_DEP_1) | instskip(NEXT) | instid1(VALU_DEP_1)
	v_fma_f64 v[10:11], v[12:13], v[8:9], v[10:11]
	v_fma_f64 v[12:13], -v[10:11], v[10:11], v[2:3]
	s_delay_alu instid0(VALU_DEP_1) | instskip(NEXT) | instid1(VALU_DEP_1)
	v_fma_f64 v[8:9], v[12:13], v[8:9], v[10:11]
	v_ldexp_f64 v[8:9], v[8:9], s0
	s_delay_alu instid0(VALU_DEP_1) | instskip(SKIP_1) | instid1(VALU_DEP_2)
	v_dual_cndmask_b32 v3, v9, v3 :: v_dual_cndmask_b32 v2, v8, v2
	v_cmp_le_f64_e32 vcc_lo, 0, v[4:5]
	v_xor_b32_e32 v8, 0x80000000, v3
	s_delay_alu instid0(VALU_DEP_1) | instskip(NEXT) | instid1(VALU_DEP_1)
	v_cndmask_b32_e32 v3, v3, v8, vcc_lo
	v_add_f64 v[8:9], v[4:5], -v[2:3]
	v_add_f64 v[10:11], v[2:3], -v[4:5]
	v_div_scale_f64 v[16:17], null, v[2:3], v[2:3], -s[16:17]
	s_delay_alu instid0(VALU_DEP_3) | instskip(NEXT) | instid1(VALU_DEP_3)
	v_fma_f64 v[6:7], v[8:9], v[8:9], v[6:7]
	v_div_scale_f64 v[14:15], null, v[2:3], v[2:3], v[10:11]
	s_delay_alu instid0(VALU_DEP_3) | instskip(NEXT) | instid1(VALU_DEP_2)
	v_rcp_f64_e32 v[24:25], v[16:17]
	v_div_scale_f64 v[4:5], null, v[6:7], v[6:7], v[8:9]
	v_div_scale_f64 v[12:13], null, v[6:7], v[6:7], -s[16:17]
	s_delay_alu instid0(VALU_DEP_3)
	v_rcp_f64_e32 v[22:23], v[14:15]
	s_waitcnt_depctr 0xfff
	v_fma_f64 v[32:33], -v[16:17], v[24:25], 1.0
	v_div_scale_f64 v[34:35], vcc_lo, v[8:9], v[6:7], v[8:9]
	v_rcp_f64_e32 v[18:19], v[4:5]
	v_rcp_f64_e32 v[20:21], v[12:13]
	s_delay_alu instid0(VALU_DEP_2)
	v_fma_f64 v[24:25], v[24:25], v[32:33], v[24:25]
	v_fma_f64 v[30:31], -v[14:15], v[22:23], 1.0
	s_waitcnt_depctr 0xfff
	v_fma_f64 v[26:27], -v[4:5], v[18:19], 1.0
	v_fma_f64 v[28:29], -v[12:13], v[20:21], 1.0
	;; [unrolled: 1-line block ×3, first 2 shown]
	v_fma_f64 v[22:23], v[22:23], v[30:31], v[22:23]
	s_delay_alu instid0(VALU_DEP_4) | instskip(NEXT) | instid1(VALU_DEP_4)
	v_fma_f64 v[18:19], v[18:19], v[26:27], v[18:19]
	v_fma_f64 v[20:21], v[20:21], v[28:29], v[20:21]
	s_delay_alu instid0(VALU_DEP_4) | instskip(NEXT) | instid1(VALU_DEP_4)
	v_fma_f64 v[24:25], v[24:25], v[32:33], v[24:25]
	v_fma_f64 v[30:31], -v[14:15], v[22:23], 1.0
	s_delay_alu instid0(VALU_DEP_4) | instskip(NEXT) | instid1(VALU_DEP_4)
	v_fma_f64 v[26:27], -v[4:5], v[18:19], 1.0
	v_fma_f64 v[28:29], -v[12:13], v[20:21], 1.0
	s_delay_alu instid0(VALU_DEP_3) | instskip(SKIP_1) | instid1(VALU_DEP_4)
	v_fma_f64 v[22:23], v[22:23], v[30:31], v[22:23]
	v_div_scale_f64 v[30:31], s3, -s[16:17], v[2:3], -s[16:17]
	v_fma_f64 v[18:19], v[18:19], v[26:27], v[18:19]
	v_div_scale_f64 v[26:27], s0, -s[16:17], v[6:7], -s[16:17]
	v_fma_f64 v[20:21], v[20:21], v[28:29], v[20:21]
	v_div_scale_f64 v[28:29], s1, v[10:11], v[2:3], v[10:11]
	v_mul_f64 v[40:41], v[30:31], v[24:25]
	v_mul_f64 v[32:33], v[34:35], v[18:19]
	s_delay_alu instid0(VALU_DEP_4) | instskip(NEXT) | instid1(VALU_DEP_4)
	v_mul_f64 v[36:37], v[26:27], v[20:21]
	v_mul_f64 v[38:39], v[28:29], v[22:23]
	s_delay_alu instid0(VALU_DEP_4) | instskip(NEXT) | instid1(VALU_DEP_4)
	v_fma_f64 v[16:17], -v[16:17], v[40:41], v[30:31]
	v_fma_f64 v[4:5], -v[4:5], v[32:33], v[34:35]
	s_delay_alu instid0(VALU_DEP_4) | instskip(NEXT) | instid1(VALU_DEP_4)
	v_fma_f64 v[12:13], -v[12:13], v[36:37], v[26:27]
	v_fma_f64 v[14:15], -v[14:15], v[38:39], v[28:29]
	s_delay_alu instid0(VALU_DEP_3) | instskip(SKIP_2) | instid1(VALU_DEP_3)
	v_div_fmas_f64 v[4:5], v[4:5], v[18:19], v[32:33]
	s_mov_b32 vcc_lo, s0
	s_mov_b32 s0, s20
	v_div_fmas_f64 v[12:13], v[12:13], v[20:21], v[36:37]
	s_mov_b32 vcc_lo, s1
	s_mov_b32 s1, s22
	s_delay_alu instid0(VALU_DEP_3) | instskip(SKIP_2) | instid1(VALU_DEP_4)
	v_div_fmas_f64 v[14:15], v[14:15], v[22:23], v[38:39]
	s_mov_b32 vcc_lo, s3
	v_div_fmas_f64 v[16:17], v[16:17], v[24:25], v[40:41]
	v_div_fixup_f64 v[4:5], v[4:5], v[6:7], v[8:9]
	s_delay_alu instid0(VALU_DEP_4) | instskip(NEXT) | instid1(VALU_DEP_4)
	v_div_fixup_f64 v[6:7], v[12:13], v[6:7], -s[16:17]
	v_div_fixup_f64 v[8:9], v[14:15], v[2:3], v[10:11]
	s_delay_alu instid0(VALU_DEP_4)
	v_div_fixup_f64 v[10:11], v[16:17], v[2:3], -s[16:17]
	ds_store_b128 v42, v[4:7]
	global_store_b128 v42, v[8:11], s[8:9]
.LBB15_17:
	s_and_not1_b32 vcc_lo, exec_lo, s1
	s_cbranch_vccz .LBB15_24
; %bb.18:
	s_and_not1_b32 vcc_lo, exec_lo, s0
	s_cbranch_vccnz .LBB15_20
.LBB15_19:
	v_mov_b32_e32 v4, 0
	s_delay_alu instid0(VALU_DEP_1)
	v_mov_b32_e32 v5, v4
	s_waitcnt vmcnt(0)
	global_store_b128 v4, v[2:5], s[6:7]
.LBB15_20:
	s_or_b32 exec_lo, exec_lo, s21
	s_waitcnt vmcnt(0) lgkmcnt(0)
	s_waitcnt_vscnt null, 0x0
	s_barrier
	buffer_gl0_inv
	s_and_saveexec_b32 s0, s2
	s_cbranch_execz .LBB15_23
; %bb.21:
	v_mad_u64_u32 v[6:7], null, s14, v0, 0
	s_lshl_b64 s[0:1], s[12:13], 4
	s_delay_alu instid0(SALU_CYCLE_1) | instskip(SKIP_2) | instid1(VALU_DEP_1)
	s_add_u32 s0, s10, s0
	s_addc_u32 s1, s11, s1
	s_lshl_b64 s[2:3], s[14:15], 10
	v_mov_b32_e32 v2, v7
	s_delay_alu instid0(VALU_DEP_1) | instskip(NEXT) | instid1(VALU_DEP_1)
	v_mad_u64_u32 v[3:4], null, s15, v0, v[2:3]
	v_dual_mov_b32 v2, 0 :: v_dual_mov_b32 v7, v3
	ds_load_b128 v[2:5], v2
	v_lshlrev_b64 v[6:7], 4, v[6:7]
	s_delay_alu instid0(VALU_DEP_1) | instskip(NEXT) | instid1(VALU_DEP_2)
	v_add_co_u32 v6, vcc_lo, s0, v6
	v_add_co_ci_u32_e32 v7, vcc_lo, s1, v7, vcc_lo
	s_mov_b32 s1, 0
	s_delay_alu instid0(VALU_DEP_2) | instskip(NEXT) | instid1(VALU_DEP_2)
	v_add_co_u32 v6, vcc_lo, v6, 8
	v_add_co_ci_u32_e32 v7, vcc_lo, 0, v7, vcc_lo
	.p2align	6
.LBB15_22:                              ; =>This Inner Loop Header: Depth=1
	global_load_b128 v[8:11], v[6:7], off offset:-8
	v_add_co_u32 v0, vcc_lo, v0, 64
	v_add_co_ci_u32_e32 v1, vcc_lo, 0, v1, vcc_lo
	s_delay_alu instid0(VALU_DEP_1) | instskip(SKIP_4) | instid1(VALU_DEP_2)
	v_cmp_le_i64_e32 vcc_lo, s[4:5], v[0:1]
	s_or_b32 s1, vcc_lo, s1
	s_waitcnt vmcnt(0) lgkmcnt(0)
	v_mul_f64 v[12:13], v[4:5], v[10:11]
	v_mul_f64 v[14:15], v[2:3], v[10:11]
	v_fma_f64 v[10:11], v[2:3], v[8:9], -v[12:13]
	s_delay_alu instid0(VALU_DEP_2) | instskip(SKIP_2) | instid1(VALU_DEP_1)
	v_fma_f64 v[12:13], v[4:5], v[8:9], v[14:15]
	global_store_b128 v[6:7], v[10:13], off offset:-8
	v_add_co_u32 v6, s0, v6, s2
	v_add_co_ci_u32_e64 v7, s0, s3, v7, s0
	s_and_not1_b32 exec_lo, exec_lo, s1
	s_cbranch_execnz .LBB15_22
.LBB15_23:
	s_nop 0
	s_sendmsg sendmsg(MSG_DEALLOC_VGPRS)
	s_endpgm
.LBB15_24:
	v_dual_mov_b32 v4, s18 :: v_dual_mov_b32 v5, s19
	s_waitcnt vmcnt(0)
	flat_store_b64 v[4:5], v[2:3]
	v_mov_b32_e32 v2, 0
	v_mov_b32_e32 v3, 0x3ff00000
	s_branch .LBB15_19
	.section	.rodata,"a",@progbits
	.p2align	6, 0x0
	.amdhsa_kernel _ZN9rocsolver6v33100L18larfg_kernel_smallILi64E19rocblas_complex_numIdEldPKPS3_EEvT1_T3_llPT2_llS8_lS7_lPT0_l
		.amdhsa_group_segment_fixed_size 32
		.amdhsa_private_segment_fixed_size 0
		.amdhsa_kernarg_size 104
		.amdhsa_user_sgpr_count 14
		.amdhsa_user_sgpr_dispatch_ptr 0
		.amdhsa_user_sgpr_queue_ptr 0
		.amdhsa_user_sgpr_kernarg_segment_ptr 1
		.amdhsa_user_sgpr_dispatch_id 0
		.amdhsa_user_sgpr_private_segment_size 0
		.amdhsa_wavefront_size32 1
		.amdhsa_uses_dynamic_stack 0
		.amdhsa_enable_private_segment 0
		.amdhsa_system_sgpr_workgroup_id_x 1
		.amdhsa_system_sgpr_workgroup_id_y 0
		.amdhsa_system_sgpr_workgroup_id_z 1
		.amdhsa_system_sgpr_workgroup_info 0
		.amdhsa_system_vgpr_workitem_id 0
		.amdhsa_next_free_vgpr 43
		.amdhsa_next_free_sgpr 28
		.amdhsa_reserve_vcc 1
		.amdhsa_float_round_mode_32 0
		.amdhsa_float_round_mode_16_64 0
		.amdhsa_float_denorm_mode_32 3
		.amdhsa_float_denorm_mode_16_64 3
		.amdhsa_dx10_clamp 1
		.amdhsa_ieee_mode 1
		.amdhsa_fp16_overflow 0
		.amdhsa_workgroup_processor_mode 1
		.amdhsa_memory_ordered 1
		.amdhsa_forward_progress 0
		.amdhsa_shared_vgpr_count 0
		.amdhsa_exception_fp_ieee_invalid_op 0
		.amdhsa_exception_fp_denorm_src 0
		.amdhsa_exception_fp_ieee_div_zero 0
		.amdhsa_exception_fp_ieee_overflow 0
		.amdhsa_exception_fp_ieee_underflow 0
		.amdhsa_exception_fp_ieee_inexact 0
		.amdhsa_exception_int_div_zero 0
	.end_amdhsa_kernel
	.section	.text._ZN9rocsolver6v33100L18larfg_kernel_smallILi64E19rocblas_complex_numIdEldPKPS3_EEvT1_T3_llPT2_llS8_lS7_lPT0_l,"axG",@progbits,_ZN9rocsolver6v33100L18larfg_kernel_smallILi64E19rocblas_complex_numIdEldPKPS3_EEvT1_T3_llPT2_llS8_lS7_lPT0_l,comdat
.Lfunc_end15:
	.size	_ZN9rocsolver6v33100L18larfg_kernel_smallILi64E19rocblas_complex_numIdEldPKPS3_EEvT1_T3_llPT2_llS8_lS7_lPT0_l, .Lfunc_end15-_ZN9rocsolver6v33100L18larfg_kernel_smallILi64E19rocblas_complex_numIdEldPKPS3_EEvT1_T3_llPT2_llS8_lS7_lPT0_l
                                        ; -- End function
	.section	.AMDGPU.csdata,"",@progbits
; Kernel info:
; codeLenInByte = 2228
; NumSgprs: 30
; NumVgprs: 43
; ScratchSize: 0
; MemoryBound: 0
; FloatMode: 240
; IeeeMode: 1
; LDSByteSize: 32 bytes/workgroup (compile time only)
; SGPRBlocks: 3
; VGPRBlocks: 5
; NumSGPRsForWavesPerEU: 30
; NumVGPRsForWavesPerEU: 43
; Occupancy: 16
; WaveLimiterHint : 1
; COMPUTE_PGM_RSRC2:SCRATCH_EN: 0
; COMPUTE_PGM_RSRC2:USER_SGPR: 14
; COMPUTE_PGM_RSRC2:TRAP_HANDLER: 0
; COMPUTE_PGM_RSRC2:TGID_X_EN: 1
; COMPUTE_PGM_RSRC2:TGID_Y_EN: 0
; COMPUTE_PGM_RSRC2:TGID_Z_EN: 1
; COMPUTE_PGM_RSRC2:TIDIG_COMP_CNT: 0
	.section	.text._ZN9rocsolver6v33100L18larfg_kernel_smallILi128E19rocblas_complex_numIdEldPKPS3_EEvT1_T3_llPT2_llS8_lS7_lPT0_l,"axG",@progbits,_ZN9rocsolver6v33100L18larfg_kernel_smallILi128E19rocblas_complex_numIdEldPKPS3_EEvT1_T3_llPT2_llS8_lS7_lPT0_l,comdat
	.globl	_ZN9rocsolver6v33100L18larfg_kernel_smallILi128E19rocblas_complex_numIdEldPKPS3_EEvT1_T3_llPT2_llS8_lS7_lPT0_l ; -- Begin function _ZN9rocsolver6v33100L18larfg_kernel_smallILi128E19rocblas_complex_numIdEldPKPS3_EEvT1_T3_llPT2_llS8_lS7_lPT0_l
	.p2align	8
	.type	_ZN9rocsolver6v33100L18larfg_kernel_smallILi128E19rocblas_complex_numIdEldPKPS3_EEvT1_T3_llPT2_llS8_lS7_lPT0_l,@function
_ZN9rocsolver6v33100L18larfg_kernel_smallILi128E19rocblas_complex_numIdEldPKPS3_EEvT1_T3_llPT2_llS8_lS7_lPT0_l: ; @_ZN9rocsolver6v33100L18larfg_kernel_smallILi128E19rocblas_complex_numIdEldPKPS3_EEvT1_T3_llPT2_llS8_lS7_lPT0_l
; %bb.0:
	s_clause 0x1
	s_load_b128 s[16:19], s[0:1], 0x0
	s_load_b256 s[4:11], s[0:1], 0x20
	s_mov_b32 s20, s15
	s_mov_b32 s21, 0
	s_load_b64 s[22:23], s[0:1], 0x10
	s_lshl_b64 s[12:13], s[20:21], 3
	s_waitcnt lgkmcnt(0)
	s_add_u32 s2, s18, s12
	s_addc_u32 s3, s19, s13
	s_add_u32 s10, s10, s12
	s_addc_u32 s11, s11, s13
	s_load_b128 s[12:15], s[0:1], 0x40
	s_load_b64 s[10:11], s[10:11], 0x0
	s_cmp_eq_u64 s[4:5], 0
	s_mov_b64 s[18:19], 0
	s_cbranch_scc1 .LBB16_2
; %bb.1:
	s_mul_i32 s9, s20, s9
	s_mul_hi_u32 s18, s20, s8
	s_mul_i32 s8, s20, s8
	s_add_i32 s9, s18, s9
	s_delay_alu instid0(SALU_CYCLE_1) | instskip(NEXT) | instid1(SALU_CYCLE_1)
	s_lshl_b64 s[8:9], s[8:9], 3
	s_add_u32 s8, s4, s8
	s_addc_u32 s9, s5, s9
	s_lshl_b64 s[4:5], s[6:7], 3
	s_delay_alu instid0(SALU_CYCLE_1)
	s_add_u32 s18, s8, s4
	s_addc_u32 s19, s9, s5
.LBB16_2:
	s_load_b64 s[6:7], s[2:3], 0x0
	v_dual_mov_b32 v1, 0 :: v_dual_mov_b32 v2, 0
	v_mov_b32_e32 v3, 0
	s_add_u32 s4, s16, -1
	s_addc_u32 s5, s17, -1
	s_delay_alu instid0(VALU_DEP_2) | instid1(SALU_CYCLE_1)
	v_cmp_gt_i64_e64 s2, s[4:5], v[0:1]
	s_delay_alu instid0(VALU_DEP_2) | instskip(NEXT) | instid1(VALU_DEP_2)
	v_dual_mov_b32 v5, v3 :: v_dual_mov_b32 v4, v2
	s_and_saveexec_b32 s16, s2
	s_cbranch_execz .LBB16_6
; %bb.3:
	s_waitcnt lgkmcnt(0)
	v_mad_u64_u32 v[2:3], null, s14, v0, 0
	s_lshl_b64 s[8:9], s[12:13], 4
	s_mov_b32 s17, 0
	s_add_u32 s3, s10, s8
	s_addc_u32 s8, s11, s9
	v_dual_mov_b32 v7, v1 :: v_dual_mov_b32 v6, v0
	s_delay_alu instid0(VALU_DEP_2) | instskip(NEXT) | instid1(VALU_DEP_1)
	v_mad_u64_u32 v[4:5], null, s15, v0, v[3:4]
	v_mov_b32_e32 v3, v4
	s_delay_alu instid0(VALU_DEP_1) | instskip(SKIP_2) | instid1(VALU_DEP_3)
	v_lshlrev_b64 v[4:5], 4, v[2:3]
	v_mov_b32_e32 v2, 0
	v_mov_b32_e32 v3, 0
	v_add_co_u32 v8, vcc_lo, s3, v4
	s_delay_alu instid0(VALU_DEP_4) | instskip(NEXT) | instid1(VALU_DEP_3)
	v_add_co_ci_u32_e32 v9, vcc_lo, s8, v5, vcc_lo
	v_dual_mov_b32 v5, v3 :: v_dual_mov_b32 v4, v2
	s_lshl_b64 s[8:9], s[14:15], 11
	.p2align	6
.LBB16_4:                               ; =>This Inner Loop Header: Depth=1
	global_load_b128 v[10:13], v[8:9], off
	v_add_co_u32 v6, vcc_lo, 0x80, v6
	v_add_co_ci_u32_e32 v7, vcc_lo, 0, v7, vcc_lo
	v_add_co_u32 v8, s3, v8, s8
	s_delay_alu instid0(VALU_DEP_1) | instskip(NEXT) | instid1(VALU_DEP_3)
	v_add_co_ci_u32_e64 v9, s3, s9, v9, s3
	v_cmp_le_i64_e32 vcc_lo, s[4:5], v[6:7]
	s_or_b32 s17, vcc_lo, s17
	s_waitcnt vmcnt(0)
	v_mul_f64 v[14:15], v[12:13], v[12:13]
	v_mul_f64 v[16:17], v[10:11], v[12:13]
	s_delay_alu instid0(VALU_DEP_2) | instskip(NEXT) | instid1(VALU_DEP_2)
	v_fma_f64 v[14:15], v[10:11], v[10:11], v[14:15]
	v_fma_f64 v[10:11], v[10:11], v[12:13], -v[16:17]
	s_delay_alu instid0(VALU_DEP_2) | instskip(NEXT) | instid1(VALU_DEP_2)
	v_add_f64 v[4:5], v[4:5], v[14:15]
	v_add_f64 v[2:3], v[2:3], v[10:11]
	s_and_not1_b32 exec_lo, exec_lo, s17
	s_cbranch_execnz .LBB16_4
; %bb.5:
	s_or_b32 exec_lo, exec_lo, s17
.LBB16_6:
	s_delay_alu instid0(SALU_CYCLE_1) | instskip(SKIP_2) | instid1(VALU_DEP_1)
	s_or_b32 exec_lo, exec_lo, s16
	v_mbcnt_lo_u32_b32 v10, -1, 0
	s_mov_b32 s3, exec_lo
	v_cmp_ne_u32_e32 vcc_lo, 31, v10
	v_add_co_ci_u32_e32 v6, vcc_lo, 0, v10, vcc_lo
	v_cmp_gt_u32_e32 vcc_lo, 30, v10
	s_delay_alu instid0(VALU_DEP_2)
	v_lshlrev_b32_e32 v9, 2, v6
	ds_bpermute_b32 v6, v9, v4
	ds_bpermute_b32 v7, v9, v5
	;; [unrolled: 1-line block ×4, first 2 shown]
	s_waitcnt lgkmcnt(0)
	v_add_f64 v[4:5], v[4:5], v[6:7]
	v_cndmask_b32_e64 v6, 0, 1, vcc_lo
	v_add_f64 v[2:3], v[2:3], v[8:9]
	v_cmp_gt_u32_e32 vcc_lo, 28, v10
	s_delay_alu instid0(VALU_DEP_3) | instskip(NEXT) | instid1(VALU_DEP_1)
	v_lshlrev_b32_e32 v6, 1, v6
	v_add_lshl_u32 v9, v6, v10, 2
	ds_bpermute_b32 v6, v9, v4
	ds_bpermute_b32 v7, v9, v5
	;; [unrolled: 1-line block ×4, first 2 shown]
	s_waitcnt lgkmcnt(2)
	v_add_f64 v[4:5], v[4:5], v[6:7]
	v_cndmask_b32_e64 v6, 0, 1, vcc_lo
	s_waitcnt lgkmcnt(0)
	v_add_f64 v[2:3], v[2:3], v[8:9]
	v_cmp_gt_u32_e32 vcc_lo, 24, v10
	s_delay_alu instid0(VALU_DEP_3) | instskip(NEXT) | instid1(VALU_DEP_1)
	v_lshlrev_b32_e32 v6, 2, v6
	v_add_lshl_u32 v9, v6, v10, 2
	ds_bpermute_b32 v6, v9, v4
	ds_bpermute_b32 v7, v9, v5
	;; [unrolled: 1-line block ×4, first 2 shown]
	s_waitcnt lgkmcnt(2)
	v_add_f64 v[4:5], v[4:5], v[6:7]
	v_cndmask_b32_e64 v6, 0, 1, vcc_lo
	s_waitcnt lgkmcnt(0)
	v_add_f64 v[2:3], v[2:3], v[8:9]
	v_cmp_gt_u32_e32 vcc_lo, 16, v10
	s_delay_alu instid0(VALU_DEP_3) | instskip(NEXT) | instid1(VALU_DEP_1)
	v_lshlrev_b32_e32 v6, 3, v6
	v_add_lshl_u32 v9, v6, v10, 2
	ds_bpermute_b32 v6, v9, v4
	ds_bpermute_b32 v7, v9, v5
	;; [unrolled: 1-line block ×4, first 2 shown]
	s_waitcnt lgkmcnt(2)
	v_add_f64 v[4:5], v[4:5], v[6:7]
	s_waitcnt lgkmcnt(0)
	v_add_f64 v[6:7], v[2:3], v[8:9]
	v_cndmask_b32_e64 v2, 0, 1, vcc_lo
	s_delay_alu instid0(VALU_DEP_1) | instskip(NEXT) | instid1(VALU_DEP_1)
	v_lshlrev_b32_e32 v2, 4, v2
	v_add_lshl_u32 v9, v2, v10, 2
	ds_bpermute_b32 v2, v9, v4
	ds_bpermute_b32 v3, v9, v5
	;; [unrolled: 1-line block ×4, first 2 shown]
	s_waitcnt lgkmcnt(2)
	v_add_f64 v[2:3], v[4:5], v[2:3]
	s_waitcnt lgkmcnt(0)
	v_add_f64 v[4:5], v[6:7], v[8:9]
	v_dual_mov_b32 v7, 0 :: v_dual_and_b32 v6, 31, v0
	s_delay_alu instid0(VALU_DEP_1)
	v_cmpx_eq_u64_e32 0, v[6:7]
	s_cbranch_execz .LBB16_8
; %bb.7:
	v_lshrrev_b32_e32 v6, 1, v0
	s_delay_alu instid0(VALU_DEP_1)
	v_and_b32_e32 v6, 48, v6
	ds_store_b128 v6, v[2:5]
.LBB16_8:
	s_or_b32 exec_lo, exec_lo, s3
	v_cmp_eq_u32_e32 vcc_lo, 0, v0
	s_waitcnt lgkmcnt(0)
	s_barrier
	buffer_gl0_inv
	s_and_saveexec_b32 s3, vcc_lo
	s_cbranch_execz .LBB16_10
; %bb.9:
	v_mov_b32_e32 v14, 0
	ds_load_b128 v[6:9], v14 offset:16
	ds_load_b128 v[10:13], v14 offset:32
	s_waitcnt lgkmcnt(1)
	v_add_f64 v[2:3], v[2:3], v[6:7]
	v_add_f64 v[4:5], v[4:5], v[8:9]
	s_waitcnt lgkmcnt(0)
	s_delay_alu instid0(VALU_DEP_2) | instskip(NEXT) | instid1(VALU_DEP_2)
	v_add_f64 v[6:7], v[2:3], v[10:11]
	v_add_f64 v[8:9], v[4:5], v[12:13]
	ds_load_b128 v[2:5], v14 offset:48
	s_waitcnt lgkmcnt(0)
	v_add_f64 v[2:3], v[6:7], v[2:3]
	v_add_f64 v[4:5], v[8:9], v[4:5]
	ds_store_b128 v14, v[2:5]
.LBB16_10:
	s_or_b32 exec_lo, exec_lo, s3
	s_waitcnt lgkmcnt(0)
	s_barrier
	buffer_gl0_inv
	s_and_saveexec_b32 s21, vcc_lo
	s_cbranch_execz .LBB16_20
; %bb.11:
	s_lshl_b64 s[8:9], s[22:23], 4
	v_mov_b32_e32 v2, 0
	s_add_u32 s6, s6, s8
	s_addc_u32 s7, s7, s9
	s_load_b128 s[24:27], s[0:1], 0x58
	s_load_b64 s[16:17], s[6:7], 0x8
	ds_load_b64 v[8:9], v2
	s_waitcnt lgkmcnt(0)
	s_mul_i32 s0, s20, s27
	v_mul_f64 v[6:7], s[16:17], s[16:17]
	v_max_f64 v[3:4], v[8:9], v[8:9]
	s_mul_hi_u32 s1, s20, s26
	s_delay_alu instid0(SALU_CYCLE_1) | instskip(SKIP_1) | instid1(SALU_CYCLE_1)
	s_add_i32 s1, s1, s0
	s_mul_i32 s0, s20, s26
	s_lshl_b64 s[0:1], s[0:1], 4
	s_delay_alu instid0(SALU_CYCLE_1)
	s_add_u32 s8, s24, s0
	s_addc_u32 s9, s25, s1
	s_cmp_eq_u64 s[18:19], 0
	s_mov_b32 s0, 0
	s_cselect_b32 s20, -1, 0
	s_cmp_lg_u64 s[18:19], 0
	s_cselect_b32 s22, -1, 0
	s_delay_alu instid0(VALU_DEP_1) | instskip(NEXT) | instid1(VALU_DEP_1)
	v_max_f64 v[3:4], v[3:4], v[6:7]
	v_cmp_nlt_f64_e32 vcc_lo, 0, v[3:4]
	s_cbranch_vccz .LBB16_14
; %bb.12:
	v_dual_mov_b32 v3, 0x3ff00000 :: v_dual_mov_b32 v4, v2
	v_mov_b32_e32 v5, v2
	s_mov_b32 s3, 0
	s_and_b32 vcc_lo, exec_lo, s22
	ds_store_b128 v2, v[2:5]
	v_mov_b32_e32 v3, v2
	global_store_b128 v2, v[2:5], s[8:9]
                                        ; implicit-def: $vgpr4_vgpr5
	s_cbranch_vccz .LBB16_15
; %bb.13:
	v_mov_b32_e32 v2, 0
	s_mov_b32 s1, -1
	global_load_b64 v[2:3], v2, s[6:7]
	s_and_b32 vcc_lo, exec_lo, s3
	s_cbranch_vccnz .LBB16_16
	s_branch .LBB16_17
.LBB16_14:
	s_mov_b32 s3, -1
.LBB16_15:
	s_mov_b32 s1, 0
                                        ; implicit-def: $vgpr2_vgpr3
	s_and_b32 vcc_lo, exec_lo, s3
	s_cbranch_vccz .LBB16_17
.LBB16_16:
	v_mov_b32_e32 v42, 0
	global_load_b64 v[4:5], v42, s[6:7]
	s_waitcnt vmcnt(0)
	v_fma_f64 v[2:3], v[4:5], v[4:5], v[6:7]
	s_delay_alu instid0(VALU_DEP_1) | instskip(NEXT) | instid1(VALU_DEP_1)
	v_add_f64 v[2:3], v[8:9], v[2:3]
	v_cmp_gt_f64_e32 vcc_lo, 0x10000000, v[2:3]
	v_cndmask_b32_e64 v8, 0, 1, vcc_lo
	s_and_b32 s0, vcc_lo, exec_lo
	s_cselect_b32 s0, 0xffffff80, 0
	s_delay_alu instid0(VALU_DEP_1) | instskip(NEXT) | instid1(VALU_DEP_1)
	v_lshlrev_b32_e32 v8, 8, v8
	v_ldexp_f64 v[2:3], v[2:3], v8
	s_delay_alu instid0(VALU_DEP_1) | instskip(SKIP_4) | instid1(VALU_DEP_1)
	v_rsq_f64_e32 v[8:9], v[2:3]
	v_cmp_class_f64_e64 vcc_lo, v[2:3], 0x260
	s_waitcnt_depctr 0xfff
	v_mul_f64 v[10:11], v[2:3], v[8:9]
	v_mul_f64 v[8:9], v[8:9], 0.5
	v_fma_f64 v[12:13], -v[8:9], v[10:11], 0.5
	s_delay_alu instid0(VALU_DEP_1) | instskip(SKIP_1) | instid1(VALU_DEP_2)
	v_fma_f64 v[10:11], v[10:11], v[12:13], v[10:11]
	v_fma_f64 v[8:9], v[8:9], v[12:13], v[8:9]
	v_fma_f64 v[12:13], -v[10:11], v[10:11], v[2:3]
	s_delay_alu instid0(VALU_DEP_1) | instskip(NEXT) | instid1(VALU_DEP_1)
	v_fma_f64 v[10:11], v[12:13], v[8:9], v[10:11]
	v_fma_f64 v[12:13], -v[10:11], v[10:11], v[2:3]
	s_delay_alu instid0(VALU_DEP_1) | instskip(NEXT) | instid1(VALU_DEP_1)
	v_fma_f64 v[8:9], v[12:13], v[8:9], v[10:11]
	v_ldexp_f64 v[8:9], v[8:9], s0
	s_delay_alu instid0(VALU_DEP_1) | instskip(SKIP_1) | instid1(VALU_DEP_2)
	v_dual_cndmask_b32 v3, v9, v3 :: v_dual_cndmask_b32 v2, v8, v2
	v_cmp_le_f64_e32 vcc_lo, 0, v[4:5]
	v_xor_b32_e32 v8, 0x80000000, v3
	s_delay_alu instid0(VALU_DEP_1) | instskip(NEXT) | instid1(VALU_DEP_1)
	v_cndmask_b32_e32 v3, v3, v8, vcc_lo
	v_add_f64 v[8:9], v[4:5], -v[2:3]
	v_add_f64 v[10:11], v[2:3], -v[4:5]
	v_div_scale_f64 v[16:17], null, v[2:3], v[2:3], -s[16:17]
	s_delay_alu instid0(VALU_DEP_3) | instskip(NEXT) | instid1(VALU_DEP_3)
	v_fma_f64 v[6:7], v[8:9], v[8:9], v[6:7]
	v_div_scale_f64 v[14:15], null, v[2:3], v[2:3], v[10:11]
	s_delay_alu instid0(VALU_DEP_3) | instskip(NEXT) | instid1(VALU_DEP_2)
	v_rcp_f64_e32 v[24:25], v[16:17]
	v_div_scale_f64 v[4:5], null, v[6:7], v[6:7], v[8:9]
	v_div_scale_f64 v[12:13], null, v[6:7], v[6:7], -s[16:17]
	s_delay_alu instid0(VALU_DEP_3)
	v_rcp_f64_e32 v[22:23], v[14:15]
	s_waitcnt_depctr 0xfff
	v_fma_f64 v[32:33], -v[16:17], v[24:25], 1.0
	v_div_scale_f64 v[34:35], vcc_lo, v[8:9], v[6:7], v[8:9]
	v_rcp_f64_e32 v[18:19], v[4:5]
	v_rcp_f64_e32 v[20:21], v[12:13]
	s_delay_alu instid0(VALU_DEP_2)
	v_fma_f64 v[24:25], v[24:25], v[32:33], v[24:25]
	v_fma_f64 v[30:31], -v[14:15], v[22:23], 1.0
	s_waitcnt_depctr 0xfff
	v_fma_f64 v[26:27], -v[4:5], v[18:19], 1.0
	v_fma_f64 v[28:29], -v[12:13], v[20:21], 1.0
	;; [unrolled: 1-line block ×3, first 2 shown]
	v_fma_f64 v[22:23], v[22:23], v[30:31], v[22:23]
	s_delay_alu instid0(VALU_DEP_4) | instskip(NEXT) | instid1(VALU_DEP_4)
	v_fma_f64 v[18:19], v[18:19], v[26:27], v[18:19]
	v_fma_f64 v[20:21], v[20:21], v[28:29], v[20:21]
	s_delay_alu instid0(VALU_DEP_4) | instskip(NEXT) | instid1(VALU_DEP_4)
	v_fma_f64 v[24:25], v[24:25], v[32:33], v[24:25]
	v_fma_f64 v[30:31], -v[14:15], v[22:23], 1.0
	s_delay_alu instid0(VALU_DEP_4) | instskip(NEXT) | instid1(VALU_DEP_4)
	v_fma_f64 v[26:27], -v[4:5], v[18:19], 1.0
	v_fma_f64 v[28:29], -v[12:13], v[20:21], 1.0
	s_delay_alu instid0(VALU_DEP_3) | instskip(SKIP_1) | instid1(VALU_DEP_4)
	v_fma_f64 v[22:23], v[22:23], v[30:31], v[22:23]
	v_div_scale_f64 v[30:31], s3, -s[16:17], v[2:3], -s[16:17]
	v_fma_f64 v[18:19], v[18:19], v[26:27], v[18:19]
	v_div_scale_f64 v[26:27], s0, -s[16:17], v[6:7], -s[16:17]
	v_fma_f64 v[20:21], v[20:21], v[28:29], v[20:21]
	v_div_scale_f64 v[28:29], s1, v[10:11], v[2:3], v[10:11]
	v_mul_f64 v[40:41], v[30:31], v[24:25]
	v_mul_f64 v[32:33], v[34:35], v[18:19]
	s_delay_alu instid0(VALU_DEP_4) | instskip(NEXT) | instid1(VALU_DEP_4)
	v_mul_f64 v[36:37], v[26:27], v[20:21]
	v_mul_f64 v[38:39], v[28:29], v[22:23]
	s_delay_alu instid0(VALU_DEP_4) | instskip(NEXT) | instid1(VALU_DEP_4)
	v_fma_f64 v[16:17], -v[16:17], v[40:41], v[30:31]
	v_fma_f64 v[4:5], -v[4:5], v[32:33], v[34:35]
	s_delay_alu instid0(VALU_DEP_4) | instskip(NEXT) | instid1(VALU_DEP_4)
	v_fma_f64 v[12:13], -v[12:13], v[36:37], v[26:27]
	v_fma_f64 v[14:15], -v[14:15], v[38:39], v[28:29]
	s_delay_alu instid0(VALU_DEP_3) | instskip(SKIP_2) | instid1(VALU_DEP_3)
	v_div_fmas_f64 v[4:5], v[4:5], v[18:19], v[32:33]
	s_mov_b32 vcc_lo, s0
	s_mov_b32 s0, s20
	v_div_fmas_f64 v[12:13], v[12:13], v[20:21], v[36:37]
	s_mov_b32 vcc_lo, s1
	s_mov_b32 s1, s22
	s_delay_alu instid0(VALU_DEP_3) | instskip(SKIP_2) | instid1(VALU_DEP_4)
	v_div_fmas_f64 v[14:15], v[14:15], v[22:23], v[38:39]
	s_mov_b32 vcc_lo, s3
	v_div_fmas_f64 v[16:17], v[16:17], v[24:25], v[40:41]
	v_div_fixup_f64 v[4:5], v[4:5], v[6:7], v[8:9]
	s_delay_alu instid0(VALU_DEP_4) | instskip(NEXT) | instid1(VALU_DEP_4)
	v_div_fixup_f64 v[6:7], v[12:13], v[6:7], -s[16:17]
	v_div_fixup_f64 v[8:9], v[14:15], v[2:3], v[10:11]
	s_delay_alu instid0(VALU_DEP_4)
	v_div_fixup_f64 v[10:11], v[16:17], v[2:3], -s[16:17]
	ds_store_b128 v42, v[4:7]
	global_store_b128 v42, v[8:11], s[8:9]
.LBB16_17:
	s_and_not1_b32 vcc_lo, exec_lo, s1
	s_cbranch_vccz .LBB16_24
; %bb.18:
	s_and_not1_b32 vcc_lo, exec_lo, s0
	s_cbranch_vccnz .LBB16_20
.LBB16_19:
	v_mov_b32_e32 v4, 0
	s_delay_alu instid0(VALU_DEP_1)
	v_mov_b32_e32 v5, v4
	s_waitcnt vmcnt(0)
	global_store_b128 v4, v[2:5], s[6:7]
.LBB16_20:
	s_or_b32 exec_lo, exec_lo, s21
	s_waitcnt vmcnt(0) lgkmcnt(0)
	s_waitcnt_vscnt null, 0x0
	s_barrier
	buffer_gl0_inv
	s_and_saveexec_b32 s0, s2
	s_cbranch_execz .LBB16_23
; %bb.21:
	v_mad_u64_u32 v[6:7], null, s14, v0, 0
	s_lshl_b64 s[0:1], s[12:13], 4
	s_delay_alu instid0(SALU_CYCLE_1) | instskip(SKIP_2) | instid1(VALU_DEP_1)
	s_add_u32 s0, s10, s0
	s_addc_u32 s1, s11, s1
	s_lshl_b64 s[2:3], s[14:15], 11
	v_mov_b32_e32 v2, v7
	s_delay_alu instid0(VALU_DEP_1) | instskip(NEXT) | instid1(VALU_DEP_1)
	v_mad_u64_u32 v[3:4], null, s15, v0, v[2:3]
	v_dual_mov_b32 v2, 0 :: v_dual_mov_b32 v7, v3
	ds_load_b128 v[2:5], v2
	v_lshlrev_b64 v[6:7], 4, v[6:7]
	s_delay_alu instid0(VALU_DEP_1) | instskip(NEXT) | instid1(VALU_DEP_2)
	v_add_co_u32 v6, vcc_lo, s0, v6
	v_add_co_ci_u32_e32 v7, vcc_lo, s1, v7, vcc_lo
	s_mov_b32 s1, 0
	s_delay_alu instid0(VALU_DEP_2) | instskip(NEXT) | instid1(VALU_DEP_2)
	v_add_co_u32 v6, vcc_lo, v6, 8
	v_add_co_ci_u32_e32 v7, vcc_lo, 0, v7, vcc_lo
	.p2align	6
.LBB16_22:                              ; =>This Inner Loop Header: Depth=1
	global_load_b128 v[8:11], v[6:7], off offset:-8
	v_add_co_u32 v0, vcc_lo, 0x80, v0
	v_add_co_ci_u32_e32 v1, vcc_lo, 0, v1, vcc_lo
	s_delay_alu instid0(VALU_DEP_1) | instskip(SKIP_4) | instid1(VALU_DEP_2)
	v_cmp_le_i64_e32 vcc_lo, s[4:5], v[0:1]
	s_or_b32 s1, vcc_lo, s1
	s_waitcnt vmcnt(0) lgkmcnt(0)
	v_mul_f64 v[12:13], v[4:5], v[10:11]
	v_mul_f64 v[14:15], v[2:3], v[10:11]
	v_fma_f64 v[10:11], v[2:3], v[8:9], -v[12:13]
	s_delay_alu instid0(VALU_DEP_2) | instskip(SKIP_2) | instid1(VALU_DEP_1)
	v_fma_f64 v[12:13], v[4:5], v[8:9], v[14:15]
	global_store_b128 v[6:7], v[10:13], off offset:-8
	v_add_co_u32 v6, s0, v6, s2
	v_add_co_ci_u32_e64 v7, s0, s3, v7, s0
	s_and_not1_b32 exec_lo, exec_lo, s1
	s_cbranch_execnz .LBB16_22
.LBB16_23:
	s_nop 0
	s_sendmsg sendmsg(MSG_DEALLOC_VGPRS)
	s_endpgm
.LBB16_24:
	v_dual_mov_b32 v4, s18 :: v_dual_mov_b32 v5, s19
	s_waitcnt vmcnt(0)
	flat_store_b64 v[4:5], v[2:3]
	v_mov_b32_e32 v2, 0
	v_mov_b32_e32 v3, 0x3ff00000
	s_branch .LBB16_19
	.section	.rodata,"a",@progbits
	.p2align	6, 0x0
	.amdhsa_kernel _ZN9rocsolver6v33100L18larfg_kernel_smallILi128E19rocblas_complex_numIdEldPKPS3_EEvT1_T3_llPT2_llS8_lS7_lPT0_l
		.amdhsa_group_segment_fixed_size 64
		.amdhsa_private_segment_fixed_size 0
		.amdhsa_kernarg_size 104
		.amdhsa_user_sgpr_count 14
		.amdhsa_user_sgpr_dispatch_ptr 0
		.amdhsa_user_sgpr_queue_ptr 0
		.amdhsa_user_sgpr_kernarg_segment_ptr 1
		.amdhsa_user_sgpr_dispatch_id 0
		.amdhsa_user_sgpr_private_segment_size 0
		.amdhsa_wavefront_size32 1
		.amdhsa_uses_dynamic_stack 0
		.amdhsa_enable_private_segment 0
		.amdhsa_system_sgpr_workgroup_id_x 1
		.amdhsa_system_sgpr_workgroup_id_y 0
		.amdhsa_system_sgpr_workgroup_id_z 1
		.amdhsa_system_sgpr_workgroup_info 0
		.amdhsa_system_vgpr_workitem_id 0
		.amdhsa_next_free_vgpr 43
		.amdhsa_next_free_sgpr 28
		.amdhsa_reserve_vcc 1
		.amdhsa_float_round_mode_32 0
		.amdhsa_float_round_mode_16_64 0
		.amdhsa_float_denorm_mode_32 3
		.amdhsa_float_denorm_mode_16_64 3
		.amdhsa_dx10_clamp 1
		.amdhsa_ieee_mode 1
		.amdhsa_fp16_overflow 0
		.amdhsa_workgroup_processor_mode 1
		.amdhsa_memory_ordered 1
		.amdhsa_forward_progress 0
		.amdhsa_shared_vgpr_count 0
		.amdhsa_exception_fp_ieee_invalid_op 0
		.amdhsa_exception_fp_denorm_src 0
		.amdhsa_exception_fp_ieee_div_zero 0
		.amdhsa_exception_fp_ieee_overflow 0
		.amdhsa_exception_fp_ieee_underflow 0
		.amdhsa_exception_fp_ieee_inexact 0
		.amdhsa_exception_int_div_zero 0
	.end_amdhsa_kernel
	.section	.text._ZN9rocsolver6v33100L18larfg_kernel_smallILi128E19rocblas_complex_numIdEldPKPS3_EEvT1_T3_llPT2_llS8_lS7_lPT0_l,"axG",@progbits,_ZN9rocsolver6v33100L18larfg_kernel_smallILi128E19rocblas_complex_numIdEldPKPS3_EEvT1_T3_llPT2_llS8_lS7_lPT0_l,comdat
.Lfunc_end16:
	.size	_ZN9rocsolver6v33100L18larfg_kernel_smallILi128E19rocblas_complex_numIdEldPKPS3_EEvT1_T3_llPT2_llS8_lS7_lPT0_l, .Lfunc_end16-_ZN9rocsolver6v33100L18larfg_kernel_smallILi128E19rocblas_complex_numIdEldPKPS3_EEvT1_T3_llPT2_llS8_lS7_lPT0_l
                                        ; -- End function
	.section	.AMDGPU.csdata,"",@progbits
; Kernel info:
; codeLenInByte = 2296
; NumSgprs: 30
; NumVgprs: 43
; ScratchSize: 0
; MemoryBound: 0
; FloatMode: 240
; IeeeMode: 1
; LDSByteSize: 64 bytes/workgroup (compile time only)
; SGPRBlocks: 3
; VGPRBlocks: 5
; NumSGPRsForWavesPerEU: 30
; NumVGPRsForWavesPerEU: 43
; Occupancy: 16
; WaveLimiterHint : 1
; COMPUTE_PGM_RSRC2:SCRATCH_EN: 0
; COMPUTE_PGM_RSRC2:USER_SGPR: 14
; COMPUTE_PGM_RSRC2:TRAP_HANDLER: 0
; COMPUTE_PGM_RSRC2:TGID_X_EN: 1
; COMPUTE_PGM_RSRC2:TGID_Y_EN: 0
; COMPUTE_PGM_RSRC2:TGID_Z_EN: 1
; COMPUTE_PGM_RSRC2:TIDIG_COMP_CNT: 0
	.section	.text._ZN9rocsolver6v33100L18larfg_kernel_smallILi256E19rocblas_complex_numIdEldPKPS3_EEvT1_T3_llPT2_llS8_lS7_lPT0_l,"axG",@progbits,_ZN9rocsolver6v33100L18larfg_kernel_smallILi256E19rocblas_complex_numIdEldPKPS3_EEvT1_T3_llPT2_llS8_lS7_lPT0_l,comdat
	.globl	_ZN9rocsolver6v33100L18larfg_kernel_smallILi256E19rocblas_complex_numIdEldPKPS3_EEvT1_T3_llPT2_llS8_lS7_lPT0_l ; -- Begin function _ZN9rocsolver6v33100L18larfg_kernel_smallILi256E19rocblas_complex_numIdEldPKPS3_EEvT1_T3_llPT2_llS8_lS7_lPT0_l
	.p2align	8
	.type	_ZN9rocsolver6v33100L18larfg_kernel_smallILi256E19rocblas_complex_numIdEldPKPS3_EEvT1_T3_llPT2_llS8_lS7_lPT0_l,@function
_ZN9rocsolver6v33100L18larfg_kernel_smallILi256E19rocblas_complex_numIdEldPKPS3_EEvT1_T3_llPT2_llS8_lS7_lPT0_l: ; @_ZN9rocsolver6v33100L18larfg_kernel_smallILi256E19rocblas_complex_numIdEldPKPS3_EEvT1_T3_llPT2_llS8_lS7_lPT0_l
; %bb.0:
	s_clause 0x1
	s_load_b128 s[16:19], s[0:1], 0x0
	s_load_b256 s[4:11], s[0:1], 0x20
	s_mov_b32 s20, s15
	s_mov_b32 s21, 0
	s_load_b64 s[22:23], s[0:1], 0x10
	s_lshl_b64 s[12:13], s[20:21], 3
	s_waitcnt lgkmcnt(0)
	s_add_u32 s2, s18, s12
	s_addc_u32 s3, s19, s13
	s_add_u32 s10, s10, s12
	s_addc_u32 s11, s11, s13
	s_load_b128 s[12:15], s[0:1], 0x40
	s_load_b64 s[10:11], s[10:11], 0x0
	s_cmp_eq_u64 s[4:5], 0
	s_mov_b64 s[18:19], 0
	s_cbranch_scc1 .LBB17_2
; %bb.1:
	s_mul_i32 s9, s20, s9
	s_mul_hi_u32 s18, s20, s8
	s_mul_i32 s8, s20, s8
	s_add_i32 s9, s18, s9
	s_delay_alu instid0(SALU_CYCLE_1) | instskip(NEXT) | instid1(SALU_CYCLE_1)
	s_lshl_b64 s[8:9], s[8:9], 3
	s_add_u32 s8, s4, s8
	s_addc_u32 s9, s5, s9
	s_lshl_b64 s[4:5], s[6:7], 3
	s_delay_alu instid0(SALU_CYCLE_1)
	s_add_u32 s18, s8, s4
	s_addc_u32 s19, s9, s5
.LBB17_2:
	s_load_b64 s[6:7], s[2:3], 0x0
	v_dual_mov_b32 v1, 0 :: v_dual_mov_b32 v2, 0
	v_mov_b32_e32 v3, 0
	s_add_u32 s4, s16, -1
	s_addc_u32 s5, s17, -1
	s_delay_alu instid0(VALU_DEP_2) | instid1(SALU_CYCLE_1)
	v_cmp_gt_i64_e64 s2, s[4:5], v[0:1]
	s_delay_alu instid0(VALU_DEP_2) | instskip(NEXT) | instid1(VALU_DEP_2)
	v_dual_mov_b32 v5, v3 :: v_dual_mov_b32 v4, v2
	s_and_saveexec_b32 s16, s2
	s_cbranch_execz .LBB17_6
; %bb.3:
	s_waitcnt lgkmcnt(0)
	v_mad_u64_u32 v[2:3], null, s14, v0, 0
	s_lshl_b64 s[8:9], s[12:13], 4
	s_mov_b32 s17, 0
	s_add_u32 s3, s10, s8
	s_addc_u32 s8, s11, s9
	v_dual_mov_b32 v7, v1 :: v_dual_mov_b32 v6, v0
	s_delay_alu instid0(VALU_DEP_2) | instskip(NEXT) | instid1(VALU_DEP_1)
	v_mad_u64_u32 v[4:5], null, s15, v0, v[3:4]
	v_mov_b32_e32 v3, v4
	s_delay_alu instid0(VALU_DEP_1) | instskip(SKIP_2) | instid1(VALU_DEP_3)
	v_lshlrev_b64 v[4:5], 4, v[2:3]
	v_mov_b32_e32 v2, 0
	v_mov_b32_e32 v3, 0
	v_add_co_u32 v8, vcc_lo, s3, v4
	s_delay_alu instid0(VALU_DEP_4) | instskip(NEXT) | instid1(VALU_DEP_3)
	v_add_co_ci_u32_e32 v9, vcc_lo, s8, v5, vcc_lo
	v_dual_mov_b32 v5, v3 :: v_dual_mov_b32 v4, v2
	s_lshl_b64 s[8:9], s[14:15], 12
	.p2align	6
.LBB17_4:                               ; =>This Inner Loop Header: Depth=1
	global_load_b128 v[10:13], v[8:9], off
	v_add_co_u32 v6, vcc_lo, 0x100, v6
	v_add_co_ci_u32_e32 v7, vcc_lo, 0, v7, vcc_lo
	v_add_co_u32 v8, s3, v8, s8
	s_delay_alu instid0(VALU_DEP_1) | instskip(NEXT) | instid1(VALU_DEP_3)
	v_add_co_ci_u32_e64 v9, s3, s9, v9, s3
	v_cmp_le_i64_e32 vcc_lo, s[4:5], v[6:7]
	s_or_b32 s17, vcc_lo, s17
	s_waitcnt vmcnt(0)
	v_mul_f64 v[14:15], v[12:13], v[12:13]
	v_mul_f64 v[16:17], v[10:11], v[12:13]
	s_delay_alu instid0(VALU_DEP_2) | instskip(NEXT) | instid1(VALU_DEP_2)
	v_fma_f64 v[14:15], v[10:11], v[10:11], v[14:15]
	v_fma_f64 v[10:11], v[10:11], v[12:13], -v[16:17]
	s_delay_alu instid0(VALU_DEP_2) | instskip(NEXT) | instid1(VALU_DEP_2)
	v_add_f64 v[4:5], v[4:5], v[14:15]
	v_add_f64 v[2:3], v[2:3], v[10:11]
	s_and_not1_b32 exec_lo, exec_lo, s17
	s_cbranch_execnz .LBB17_4
; %bb.5:
	s_or_b32 exec_lo, exec_lo, s17
.LBB17_6:
	s_delay_alu instid0(SALU_CYCLE_1) | instskip(SKIP_2) | instid1(VALU_DEP_1)
	s_or_b32 exec_lo, exec_lo, s16
	v_mbcnt_lo_u32_b32 v10, -1, 0
	s_mov_b32 s3, exec_lo
	v_cmp_ne_u32_e32 vcc_lo, 31, v10
	v_add_co_ci_u32_e32 v6, vcc_lo, 0, v10, vcc_lo
	v_cmp_gt_u32_e32 vcc_lo, 30, v10
	s_delay_alu instid0(VALU_DEP_2)
	v_lshlrev_b32_e32 v9, 2, v6
	ds_bpermute_b32 v6, v9, v4
	ds_bpermute_b32 v7, v9, v5
	;; [unrolled: 1-line block ×4, first 2 shown]
	s_waitcnt lgkmcnt(0)
	v_add_f64 v[4:5], v[4:5], v[6:7]
	v_cndmask_b32_e64 v6, 0, 1, vcc_lo
	v_add_f64 v[2:3], v[2:3], v[8:9]
	v_cmp_gt_u32_e32 vcc_lo, 28, v10
	s_delay_alu instid0(VALU_DEP_3) | instskip(NEXT) | instid1(VALU_DEP_1)
	v_lshlrev_b32_e32 v6, 1, v6
	v_add_lshl_u32 v9, v6, v10, 2
	ds_bpermute_b32 v6, v9, v4
	ds_bpermute_b32 v7, v9, v5
	;; [unrolled: 1-line block ×4, first 2 shown]
	s_waitcnt lgkmcnt(2)
	v_add_f64 v[4:5], v[4:5], v[6:7]
	v_cndmask_b32_e64 v6, 0, 1, vcc_lo
	s_waitcnt lgkmcnt(0)
	v_add_f64 v[2:3], v[2:3], v[8:9]
	v_cmp_gt_u32_e32 vcc_lo, 24, v10
	s_delay_alu instid0(VALU_DEP_3) | instskip(NEXT) | instid1(VALU_DEP_1)
	v_lshlrev_b32_e32 v6, 2, v6
	v_add_lshl_u32 v9, v6, v10, 2
	ds_bpermute_b32 v6, v9, v4
	ds_bpermute_b32 v7, v9, v5
	;; [unrolled: 1-line block ×4, first 2 shown]
	s_waitcnt lgkmcnt(2)
	v_add_f64 v[4:5], v[4:5], v[6:7]
	v_cndmask_b32_e64 v6, 0, 1, vcc_lo
	s_waitcnt lgkmcnt(0)
	v_add_f64 v[2:3], v[2:3], v[8:9]
	v_cmp_gt_u32_e32 vcc_lo, 16, v10
	s_delay_alu instid0(VALU_DEP_3) | instskip(NEXT) | instid1(VALU_DEP_1)
	v_lshlrev_b32_e32 v6, 3, v6
	v_add_lshl_u32 v9, v6, v10, 2
	ds_bpermute_b32 v6, v9, v4
	ds_bpermute_b32 v7, v9, v5
	;; [unrolled: 1-line block ×4, first 2 shown]
	s_waitcnt lgkmcnt(2)
	v_add_f64 v[4:5], v[4:5], v[6:7]
	s_waitcnt lgkmcnt(0)
	v_add_f64 v[6:7], v[2:3], v[8:9]
	v_cndmask_b32_e64 v2, 0, 1, vcc_lo
	s_delay_alu instid0(VALU_DEP_1) | instskip(NEXT) | instid1(VALU_DEP_1)
	v_lshlrev_b32_e32 v2, 4, v2
	v_add_lshl_u32 v9, v2, v10, 2
	ds_bpermute_b32 v2, v9, v4
	ds_bpermute_b32 v3, v9, v5
	;; [unrolled: 1-line block ×4, first 2 shown]
	s_waitcnt lgkmcnt(2)
	v_add_f64 v[2:3], v[4:5], v[2:3]
	s_waitcnt lgkmcnt(0)
	v_add_f64 v[4:5], v[6:7], v[8:9]
	v_dual_mov_b32 v7, 0 :: v_dual_and_b32 v6, 31, v0
	s_delay_alu instid0(VALU_DEP_1)
	v_cmpx_eq_u64_e32 0, v[6:7]
	s_cbranch_execz .LBB17_8
; %bb.7:
	v_lshrrev_b32_e32 v6, 1, v0
	s_delay_alu instid0(VALU_DEP_1)
	v_and_b32_e32 v6, 0x70, v6
	ds_store_b128 v6, v[2:5]
.LBB17_8:
	s_or_b32 exec_lo, exec_lo, s3
	v_cmp_eq_u32_e32 vcc_lo, 0, v0
	s_waitcnt lgkmcnt(0)
	s_barrier
	buffer_gl0_inv
	s_and_saveexec_b32 s3, vcc_lo
	s_cbranch_execz .LBB17_10
; %bb.9:
	v_mov_b32_e32 v14, 0
	ds_load_b128 v[6:9], v14 offset:16
	ds_load_b128 v[10:13], v14 offset:32
	s_waitcnt lgkmcnt(1)
	v_add_f64 v[2:3], v[2:3], v[6:7]
	v_add_f64 v[4:5], v[4:5], v[8:9]
	s_waitcnt lgkmcnt(0)
	s_delay_alu instid0(VALU_DEP_2) | instskip(NEXT) | instid1(VALU_DEP_2)
	v_add_f64 v[10:11], v[2:3], v[10:11]
	v_add_f64 v[12:13], v[4:5], v[12:13]
	ds_load_b128 v[2:5], v14 offset:48
	ds_load_b128 v[6:9], v14 offset:64
	s_waitcnt lgkmcnt(1)
	v_add_f64 v[2:3], v[10:11], v[2:3]
	v_add_f64 v[4:5], v[12:13], v[4:5]
	s_waitcnt lgkmcnt(0)
	s_delay_alu instid0(VALU_DEP_2) | instskip(NEXT) | instid1(VALU_DEP_2)
	v_add_f64 v[10:11], v[2:3], v[6:7]
	v_add_f64 v[12:13], v[4:5], v[8:9]
	;; [unrolled: 9-line block ×3, first 2 shown]
	ds_load_b128 v[2:5], v14 offset:112
	s_waitcnt lgkmcnt(0)
	v_add_f64 v[2:3], v[6:7], v[2:3]
	v_add_f64 v[4:5], v[8:9], v[4:5]
	ds_store_b128 v14, v[2:5]
.LBB17_10:
	s_or_b32 exec_lo, exec_lo, s3
	s_waitcnt lgkmcnt(0)
	s_barrier
	buffer_gl0_inv
	s_and_saveexec_b32 s21, vcc_lo
	s_cbranch_execz .LBB17_20
; %bb.11:
	s_lshl_b64 s[8:9], s[22:23], 4
	v_mov_b32_e32 v2, 0
	s_add_u32 s6, s6, s8
	s_addc_u32 s7, s7, s9
	s_load_b128 s[24:27], s[0:1], 0x58
	s_load_b64 s[16:17], s[6:7], 0x8
	ds_load_b64 v[8:9], v2
	s_waitcnt lgkmcnt(0)
	s_mul_i32 s0, s20, s27
	v_mul_f64 v[6:7], s[16:17], s[16:17]
	v_max_f64 v[3:4], v[8:9], v[8:9]
	s_mul_hi_u32 s1, s20, s26
	s_delay_alu instid0(SALU_CYCLE_1) | instskip(SKIP_1) | instid1(SALU_CYCLE_1)
	s_add_i32 s1, s1, s0
	s_mul_i32 s0, s20, s26
	s_lshl_b64 s[0:1], s[0:1], 4
	s_delay_alu instid0(SALU_CYCLE_1)
	s_add_u32 s8, s24, s0
	s_addc_u32 s9, s25, s1
	s_cmp_eq_u64 s[18:19], 0
	s_mov_b32 s0, 0
	s_cselect_b32 s20, -1, 0
	s_cmp_lg_u64 s[18:19], 0
	s_cselect_b32 s22, -1, 0
	s_delay_alu instid0(VALU_DEP_1) | instskip(NEXT) | instid1(VALU_DEP_1)
	v_max_f64 v[3:4], v[3:4], v[6:7]
	v_cmp_nlt_f64_e32 vcc_lo, 0, v[3:4]
	s_cbranch_vccz .LBB17_14
; %bb.12:
	v_dual_mov_b32 v3, 0x3ff00000 :: v_dual_mov_b32 v4, v2
	v_mov_b32_e32 v5, v2
	s_mov_b32 s3, 0
	s_and_b32 vcc_lo, exec_lo, s22
	ds_store_b128 v2, v[2:5]
	v_mov_b32_e32 v3, v2
	global_store_b128 v2, v[2:5], s[8:9]
                                        ; implicit-def: $vgpr4_vgpr5
	s_cbranch_vccz .LBB17_15
; %bb.13:
	v_mov_b32_e32 v2, 0
	s_mov_b32 s1, -1
	global_load_b64 v[2:3], v2, s[6:7]
	s_and_b32 vcc_lo, exec_lo, s3
	s_cbranch_vccnz .LBB17_16
	s_branch .LBB17_17
.LBB17_14:
	s_mov_b32 s3, -1
.LBB17_15:
	s_mov_b32 s1, 0
                                        ; implicit-def: $vgpr2_vgpr3
	s_and_b32 vcc_lo, exec_lo, s3
	s_cbranch_vccz .LBB17_17
.LBB17_16:
	v_mov_b32_e32 v42, 0
	global_load_b64 v[4:5], v42, s[6:7]
	s_waitcnt vmcnt(0)
	v_fma_f64 v[2:3], v[4:5], v[4:5], v[6:7]
	s_delay_alu instid0(VALU_DEP_1) | instskip(NEXT) | instid1(VALU_DEP_1)
	v_add_f64 v[2:3], v[8:9], v[2:3]
	v_cmp_gt_f64_e32 vcc_lo, 0x10000000, v[2:3]
	v_cndmask_b32_e64 v8, 0, 1, vcc_lo
	s_and_b32 s0, vcc_lo, exec_lo
	s_cselect_b32 s0, 0xffffff80, 0
	s_delay_alu instid0(VALU_DEP_1) | instskip(NEXT) | instid1(VALU_DEP_1)
	v_lshlrev_b32_e32 v8, 8, v8
	v_ldexp_f64 v[2:3], v[2:3], v8
	s_delay_alu instid0(VALU_DEP_1) | instskip(SKIP_4) | instid1(VALU_DEP_1)
	v_rsq_f64_e32 v[8:9], v[2:3]
	v_cmp_class_f64_e64 vcc_lo, v[2:3], 0x260
	s_waitcnt_depctr 0xfff
	v_mul_f64 v[10:11], v[2:3], v[8:9]
	v_mul_f64 v[8:9], v[8:9], 0.5
	v_fma_f64 v[12:13], -v[8:9], v[10:11], 0.5
	s_delay_alu instid0(VALU_DEP_1) | instskip(SKIP_1) | instid1(VALU_DEP_2)
	v_fma_f64 v[10:11], v[10:11], v[12:13], v[10:11]
	v_fma_f64 v[8:9], v[8:9], v[12:13], v[8:9]
	v_fma_f64 v[12:13], -v[10:11], v[10:11], v[2:3]
	s_delay_alu instid0(VALU_DEP_1) | instskip(NEXT) | instid1(VALU_DEP_1)
	v_fma_f64 v[10:11], v[12:13], v[8:9], v[10:11]
	v_fma_f64 v[12:13], -v[10:11], v[10:11], v[2:3]
	s_delay_alu instid0(VALU_DEP_1) | instskip(NEXT) | instid1(VALU_DEP_1)
	v_fma_f64 v[8:9], v[12:13], v[8:9], v[10:11]
	v_ldexp_f64 v[8:9], v[8:9], s0
	s_delay_alu instid0(VALU_DEP_1) | instskip(SKIP_1) | instid1(VALU_DEP_2)
	v_dual_cndmask_b32 v3, v9, v3 :: v_dual_cndmask_b32 v2, v8, v2
	v_cmp_le_f64_e32 vcc_lo, 0, v[4:5]
	v_xor_b32_e32 v8, 0x80000000, v3
	s_delay_alu instid0(VALU_DEP_1) | instskip(NEXT) | instid1(VALU_DEP_1)
	v_cndmask_b32_e32 v3, v3, v8, vcc_lo
	v_add_f64 v[8:9], v[4:5], -v[2:3]
	v_add_f64 v[10:11], v[2:3], -v[4:5]
	v_div_scale_f64 v[16:17], null, v[2:3], v[2:3], -s[16:17]
	s_delay_alu instid0(VALU_DEP_3) | instskip(NEXT) | instid1(VALU_DEP_3)
	v_fma_f64 v[6:7], v[8:9], v[8:9], v[6:7]
	v_div_scale_f64 v[14:15], null, v[2:3], v[2:3], v[10:11]
	s_delay_alu instid0(VALU_DEP_3) | instskip(NEXT) | instid1(VALU_DEP_2)
	v_rcp_f64_e32 v[24:25], v[16:17]
	v_div_scale_f64 v[4:5], null, v[6:7], v[6:7], v[8:9]
	v_div_scale_f64 v[12:13], null, v[6:7], v[6:7], -s[16:17]
	s_delay_alu instid0(VALU_DEP_3)
	v_rcp_f64_e32 v[22:23], v[14:15]
	s_waitcnt_depctr 0xfff
	v_fma_f64 v[32:33], -v[16:17], v[24:25], 1.0
	v_div_scale_f64 v[34:35], vcc_lo, v[8:9], v[6:7], v[8:9]
	v_rcp_f64_e32 v[18:19], v[4:5]
	v_rcp_f64_e32 v[20:21], v[12:13]
	s_delay_alu instid0(VALU_DEP_2)
	v_fma_f64 v[24:25], v[24:25], v[32:33], v[24:25]
	v_fma_f64 v[30:31], -v[14:15], v[22:23], 1.0
	s_waitcnt_depctr 0xfff
	v_fma_f64 v[26:27], -v[4:5], v[18:19], 1.0
	v_fma_f64 v[28:29], -v[12:13], v[20:21], 1.0
	;; [unrolled: 1-line block ×3, first 2 shown]
	v_fma_f64 v[22:23], v[22:23], v[30:31], v[22:23]
	s_delay_alu instid0(VALU_DEP_4) | instskip(NEXT) | instid1(VALU_DEP_4)
	v_fma_f64 v[18:19], v[18:19], v[26:27], v[18:19]
	v_fma_f64 v[20:21], v[20:21], v[28:29], v[20:21]
	s_delay_alu instid0(VALU_DEP_4) | instskip(NEXT) | instid1(VALU_DEP_4)
	v_fma_f64 v[24:25], v[24:25], v[32:33], v[24:25]
	v_fma_f64 v[30:31], -v[14:15], v[22:23], 1.0
	s_delay_alu instid0(VALU_DEP_4) | instskip(NEXT) | instid1(VALU_DEP_4)
	v_fma_f64 v[26:27], -v[4:5], v[18:19], 1.0
	v_fma_f64 v[28:29], -v[12:13], v[20:21], 1.0
	s_delay_alu instid0(VALU_DEP_3) | instskip(SKIP_1) | instid1(VALU_DEP_4)
	v_fma_f64 v[22:23], v[22:23], v[30:31], v[22:23]
	v_div_scale_f64 v[30:31], s3, -s[16:17], v[2:3], -s[16:17]
	v_fma_f64 v[18:19], v[18:19], v[26:27], v[18:19]
	v_div_scale_f64 v[26:27], s0, -s[16:17], v[6:7], -s[16:17]
	v_fma_f64 v[20:21], v[20:21], v[28:29], v[20:21]
	v_div_scale_f64 v[28:29], s1, v[10:11], v[2:3], v[10:11]
	v_mul_f64 v[40:41], v[30:31], v[24:25]
	v_mul_f64 v[32:33], v[34:35], v[18:19]
	s_delay_alu instid0(VALU_DEP_4) | instskip(NEXT) | instid1(VALU_DEP_4)
	v_mul_f64 v[36:37], v[26:27], v[20:21]
	v_mul_f64 v[38:39], v[28:29], v[22:23]
	s_delay_alu instid0(VALU_DEP_4) | instskip(NEXT) | instid1(VALU_DEP_4)
	v_fma_f64 v[16:17], -v[16:17], v[40:41], v[30:31]
	v_fma_f64 v[4:5], -v[4:5], v[32:33], v[34:35]
	s_delay_alu instid0(VALU_DEP_4) | instskip(NEXT) | instid1(VALU_DEP_4)
	v_fma_f64 v[12:13], -v[12:13], v[36:37], v[26:27]
	v_fma_f64 v[14:15], -v[14:15], v[38:39], v[28:29]
	s_delay_alu instid0(VALU_DEP_3) | instskip(SKIP_2) | instid1(VALU_DEP_3)
	v_div_fmas_f64 v[4:5], v[4:5], v[18:19], v[32:33]
	s_mov_b32 vcc_lo, s0
	s_mov_b32 s0, s20
	v_div_fmas_f64 v[12:13], v[12:13], v[20:21], v[36:37]
	s_mov_b32 vcc_lo, s1
	s_mov_b32 s1, s22
	s_delay_alu instid0(VALU_DEP_3) | instskip(SKIP_2) | instid1(VALU_DEP_4)
	v_div_fmas_f64 v[14:15], v[14:15], v[22:23], v[38:39]
	s_mov_b32 vcc_lo, s3
	v_div_fmas_f64 v[16:17], v[16:17], v[24:25], v[40:41]
	v_div_fixup_f64 v[4:5], v[4:5], v[6:7], v[8:9]
	s_delay_alu instid0(VALU_DEP_4) | instskip(NEXT) | instid1(VALU_DEP_4)
	v_div_fixup_f64 v[6:7], v[12:13], v[6:7], -s[16:17]
	v_div_fixup_f64 v[8:9], v[14:15], v[2:3], v[10:11]
	s_delay_alu instid0(VALU_DEP_4)
	v_div_fixup_f64 v[10:11], v[16:17], v[2:3], -s[16:17]
	ds_store_b128 v42, v[4:7]
	global_store_b128 v42, v[8:11], s[8:9]
.LBB17_17:
	s_and_not1_b32 vcc_lo, exec_lo, s1
	s_cbranch_vccz .LBB17_24
; %bb.18:
	s_and_not1_b32 vcc_lo, exec_lo, s0
	s_cbranch_vccnz .LBB17_20
.LBB17_19:
	v_mov_b32_e32 v4, 0
	s_delay_alu instid0(VALU_DEP_1)
	v_mov_b32_e32 v5, v4
	s_waitcnt vmcnt(0)
	global_store_b128 v4, v[2:5], s[6:7]
.LBB17_20:
	s_or_b32 exec_lo, exec_lo, s21
	s_waitcnt vmcnt(0) lgkmcnt(0)
	s_waitcnt_vscnt null, 0x0
	s_barrier
	buffer_gl0_inv
	s_and_saveexec_b32 s0, s2
	s_cbranch_execz .LBB17_23
; %bb.21:
	v_mad_u64_u32 v[6:7], null, s14, v0, 0
	s_lshl_b64 s[0:1], s[12:13], 4
	s_delay_alu instid0(SALU_CYCLE_1) | instskip(SKIP_2) | instid1(VALU_DEP_1)
	s_add_u32 s0, s10, s0
	s_addc_u32 s1, s11, s1
	s_lshl_b64 s[2:3], s[14:15], 12
	v_mov_b32_e32 v2, v7
	s_delay_alu instid0(VALU_DEP_1) | instskip(NEXT) | instid1(VALU_DEP_1)
	v_mad_u64_u32 v[3:4], null, s15, v0, v[2:3]
	v_dual_mov_b32 v2, 0 :: v_dual_mov_b32 v7, v3
	ds_load_b128 v[2:5], v2
	v_lshlrev_b64 v[6:7], 4, v[6:7]
	s_delay_alu instid0(VALU_DEP_1) | instskip(NEXT) | instid1(VALU_DEP_2)
	v_add_co_u32 v6, vcc_lo, s0, v6
	v_add_co_ci_u32_e32 v7, vcc_lo, s1, v7, vcc_lo
	s_mov_b32 s1, 0
	s_delay_alu instid0(VALU_DEP_2) | instskip(NEXT) | instid1(VALU_DEP_2)
	v_add_co_u32 v6, vcc_lo, v6, 8
	v_add_co_ci_u32_e32 v7, vcc_lo, 0, v7, vcc_lo
	.p2align	6
.LBB17_22:                              ; =>This Inner Loop Header: Depth=1
	global_load_b128 v[8:11], v[6:7], off offset:-8
	v_add_co_u32 v0, vcc_lo, 0x100, v0
	v_add_co_ci_u32_e32 v1, vcc_lo, 0, v1, vcc_lo
	s_delay_alu instid0(VALU_DEP_1) | instskip(SKIP_4) | instid1(VALU_DEP_2)
	v_cmp_le_i64_e32 vcc_lo, s[4:5], v[0:1]
	s_or_b32 s1, vcc_lo, s1
	s_waitcnt vmcnt(0) lgkmcnt(0)
	v_mul_f64 v[12:13], v[4:5], v[10:11]
	v_mul_f64 v[14:15], v[2:3], v[10:11]
	v_fma_f64 v[10:11], v[2:3], v[8:9], -v[12:13]
	s_delay_alu instid0(VALU_DEP_2) | instskip(SKIP_2) | instid1(VALU_DEP_1)
	v_fma_f64 v[12:13], v[4:5], v[8:9], v[14:15]
	global_store_b128 v[6:7], v[10:13], off offset:-8
	v_add_co_u32 v6, s0, v6, s2
	v_add_co_ci_u32_e64 v7, s0, s3, v7, s0
	s_and_not1_b32 exec_lo, exec_lo, s1
	s_cbranch_execnz .LBB17_22
.LBB17_23:
	s_nop 0
	s_sendmsg sendmsg(MSG_DEALLOC_VGPRS)
	s_endpgm
.LBB17_24:
	v_dual_mov_b32 v4, s18 :: v_dual_mov_b32 v5, s19
	s_waitcnt vmcnt(0)
	flat_store_b64 v[4:5], v[2:3]
	v_mov_b32_e32 v2, 0
	v_mov_b32_e32 v3, 0x3ff00000
	s_branch .LBB17_19
	.section	.rodata,"a",@progbits
	.p2align	6, 0x0
	.amdhsa_kernel _ZN9rocsolver6v33100L18larfg_kernel_smallILi256E19rocblas_complex_numIdEldPKPS3_EEvT1_T3_llPT2_llS8_lS7_lPT0_l
		.amdhsa_group_segment_fixed_size 128
		.amdhsa_private_segment_fixed_size 0
		.amdhsa_kernarg_size 104
		.amdhsa_user_sgpr_count 14
		.amdhsa_user_sgpr_dispatch_ptr 0
		.amdhsa_user_sgpr_queue_ptr 0
		.amdhsa_user_sgpr_kernarg_segment_ptr 1
		.amdhsa_user_sgpr_dispatch_id 0
		.amdhsa_user_sgpr_private_segment_size 0
		.amdhsa_wavefront_size32 1
		.amdhsa_uses_dynamic_stack 0
		.amdhsa_enable_private_segment 0
		.amdhsa_system_sgpr_workgroup_id_x 1
		.amdhsa_system_sgpr_workgroup_id_y 0
		.amdhsa_system_sgpr_workgroup_id_z 1
		.amdhsa_system_sgpr_workgroup_info 0
		.amdhsa_system_vgpr_workitem_id 0
		.amdhsa_next_free_vgpr 43
		.amdhsa_next_free_sgpr 28
		.amdhsa_reserve_vcc 1
		.amdhsa_float_round_mode_32 0
		.amdhsa_float_round_mode_16_64 0
		.amdhsa_float_denorm_mode_32 3
		.amdhsa_float_denorm_mode_16_64 3
		.amdhsa_dx10_clamp 1
		.amdhsa_ieee_mode 1
		.amdhsa_fp16_overflow 0
		.amdhsa_workgroup_processor_mode 1
		.amdhsa_memory_ordered 1
		.amdhsa_forward_progress 0
		.amdhsa_shared_vgpr_count 0
		.amdhsa_exception_fp_ieee_invalid_op 0
		.amdhsa_exception_fp_denorm_src 0
		.amdhsa_exception_fp_ieee_div_zero 0
		.amdhsa_exception_fp_ieee_overflow 0
		.amdhsa_exception_fp_ieee_underflow 0
		.amdhsa_exception_fp_ieee_inexact 0
		.amdhsa_exception_int_div_zero 0
	.end_amdhsa_kernel
	.section	.text._ZN9rocsolver6v33100L18larfg_kernel_smallILi256E19rocblas_complex_numIdEldPKPS3_EEvT1_T3_llPT2_llS8_lS7_lPT0_l,"axG",@progbits,_ZN9rocsolver6v33100L18larfg_kernel_smallILi256E19rocblas_complex_numIdEldPKPS3_EEvT1_T3_llPT2_llS8_lS7_lPT0_l,comdat
.Lfunc_end17:
	.size	_ZN9rocsolver6v33100L18larfg_kernel_smallILi256E19rocblas_complex_numIdEldPKPS3_EEvT1_T3_llPT2_llS8_lS7_lPT0_l, .Lfunc_end17-_ZN9rocsolver6v33100L18larfg_kernel_smallILi256E19rocblas_complex_numIdEldPKPS3_EEvT1_T3_llPT2_llS8_lS7_lPT0_l
                                        ; -- End function
	.section	.AMDGPU.csdata,"",@progbits
; Kernel info:
; codeLenInByte = 2420
; NumSgprs: 30
; NumVgprs: 43
; ScratchSize: 0
; MemoryBound: 0
; FloatMode: 240
; IeeeMode: 1
; LDSByteSize: 128 bytes/workgroup (compile time only)
; SGPRBlocks: 3
; VGPRBlocks: 5
; NumSGPRsForWavesPerEU: 30
; NumVGPRsForWavesPerEU: 43
; Occupancy: 16
; WaveLimiterHint : 1
; COMPUTE_PGM_RSRC2:SCRATCH_EN: 0
; COMPUTE_PGM_RSRC2:USER_SGPR: 14
; COMPUTE_PGM_RSRC2:TRAP_HANDLER: 0
; COMPUTE_PGM_RSRC2:TGID_X_EN: 1
; COMPUTE_PGM_RSRC2:TGID_Y_EN: 0
; COMPUTE_PGM_RSRC2:TGID_Z_EN: 1
; COMPUTE_PGM_RSRC2:TIDIG_COMP_CNT: 0
	.section	.text._ZN9rocsolver6v33100L18larfg_kernel_smallILi512E19rocblas_complex_numIdEldPKPS3_EEvT1_T3_llPT2_llS8_lS7_lPT0_l,"axG",@progbits,_ZN9rocsolver6v33100L18larfg_kernel_smallILi512E19rocblas_complex_numIdEldPKPS3_EEvT1_T3_llPT2_llS8_lS7_lPT0_l,comdat
	.globl	_ZN9rocsolver6v33100L18larfg_kernel_smallILi512E19rocblas_complex_numIdEldPKPS3_EEvT1_T3_llPT2_llS8_lS7_lPT0_l ; -- Begin function _ZN9rocsolver6v33100L18larfg_kernel_smallILi512E19rocblas_complex_numIdEldPKPS3_EEvT1_T3_llPT2_llS8_lS7_lPT0_l
	.p2align	8
	.type	_ZN9rocsolver6v33100L18larfg_kernel_smallILi512E19rocblas_complex_numIdEldPKPS3_EEvT1_T3_llPT2_llS8_lS7_lPT0_l,@function
_ZN9rocsolver6v33100L18larfg_kernel_smallILi512E19rocblas_complex_numIdEldPKPS3_EEvT1_T3_llPT2_llS8_lS7_lPT0_l: ; @_ZN9rocsolver6v33100L18larfg_kernel_smallILi512E19rocblas_complex_numIdEldPKPS3_EEvT1_T3_llPT2_llS8_lS7_lPT0_l
; %bb.0:
	s_clause 0x1
	s_load_b128 s[16:19], s[0:1], 0x0
	s_load_b256 s[4:11], s[0:1], 0x20
	s_mov_b32 s20, s15
	s_mov_b32 s21, 0
	s_load_b64 s[22:23], s[0:1], 0x10
	s_lshl_b64 s[12:13], s[20:21], 3
	s_waitcnt lgkmcnt(0)
	s_add_u32 s2, s18, s12
	s_addc_u32 s3, s19, s13
	s_add_u32 s10, s10, s12
	s_addc_u32 s11, s11, s13
	s_load_b128 s[12:15], s[0:1], 0x40
	s_load_b64 s[10:11], s[10:11], 0x0
	s_cmp_eq_u64 s[4:5], 0
	s_mov_b64 s[18:19], 0
	s_cbranch_scc1 .LBB18_2
; %bb.1:
	s_mul_i32 s9, s20, s9
	s_mul_hi_u32 s18, s20, s8
	s_mul_i32 s8, s20, s8
	s_add_i32 s9, s18, s9
	s_delay_alu instid0(SALU_CYCLE_1) | instskip(NEXT) | instid1(SALU_CYCLE_1)
	s_lshl_b64 s[8:9], s[8:9], 3
	s_add_u32 s8, s4, s8
	s_addc_u32 s9, s5, s9
	s_lshl_b64 s[4:5], s[6:7], 3
	s_delay_alu instid0(SALU_CYCLE_1)
	s_add_u32 s18, s8, s4
	s_addc_u32 s19, s9, s5
.LBB18_2:
	s_load_b64 s[6:7], s[2:3], 0x0
	v_dual_mov_b32 v1, 0 :: v_dual_mov_b32 v2, 0
	v_mov_b32_e32 v3, 0
	s_add_u32 s4, s16, -1
	s_addc_u32 s5, s17, -1
	s_delay_alu instid0(VALU_DEP_2) | instid1(SALU_CYCLE_1)
	v_cmp_gt_i64_e64 s2, s[4:5], v[0:1]
	s_delay_alu instid0(VALU_DEP_2) | instskip(NEXT) | instid1(VALU_DEP_2)
	v_dual_mov_b32 v5, v3 :: v_dual_mov_b32 v4, v2
	s_and_saveexec_b32 s16, s2
	s_cbranch_execz .LBB18_6
; %bb.3:
	s_waitcnt lgkmcnt(0)
	v_mad_u64_u32 v[2:3], null, s14, v0, 0
	s_lshl_b64 s[8:9], s[12:13], 4
	s_mov_b32 s17, 0
	s_add_u32 s3, s10, s8
	s_addc_u32 s8, s11, s9
	v_dual_mov_b32 v7, v1 :: v_dual_mov_b32 v6, v0
	s_delay_alu instid0(VALU_DEP_2) | instskip(NEXT) | instid1(VALU_DEP_1)
	v_mad_u64_u32 v[4:5], null, s15, v0, v[3:4]
	v_mov_b32_e32 v3, v4
	s_delay_alu instid0(VALU_DEP_1) | instskip(SKIP_2) | instid1(VALU_DEP_3)
	v_lshlrev_b64 v[4:5], 4, v[2:3]
	v_mov_b32_e32 v2, 0
	v_mov_b32_e32 v3, 0
	v_add_co_u32 v8, vcc_lo, s3, v4
	s_delay_alu instid0(VALU_DEP_4) | instskip(NEXT) | instid1(VALU_DEP_3)
	v_add_co_ci_u32_e32 v9, vcc_lo, s8, v5, vcc_lo
	v_dual_mov_b32 v5, v3 :: v_dual_mov_b32 v4, v2
	s_lshl_b64 s[8:9], s[14:15], 13
	.p2align	6
.LBB18_4:                               ; =>This Inner Loop Header: Depth=1
	global_load_b128 v[10:13], v[8:9], off
	v_add_co_u32 v6, vcc_lo, 0x200, v6
	v_add_co_ci_u32_e32 v7, vcc_lo, 0, v7, vcc_lo
	v_add_co_u32 v8, s3, v8, s8
	s_delay_alu instid0(VALU_DEP_1) | instskip(NEXT) | instid1(VALU_DEP_3)
	v_add_co_ci_u32_e64 v9, s3, s9, v9, s3
	v_cmp_le_i64_e32 vcc_lo, s[4:5], v[6:7]
	s_or_b32 s17, vcc_lo, s17
	s_waitcnt vmcnt(0)
	v_mul_f64 v[14:15], v[12:13], v[12:13]
	v_mul_f64 v[16:17], v[10:11], v[12:13]
	s_delay_alu instid0(VALU_DEP_2) | instskip(NEXT) | instid1(VALU_DEP_2)
	v_fma_f64 v[14:15], v[10:11], v[10:11], v[14:15]
	v_fma_f64 v[10:11], v[10:11], v[12:13], -v[16:17]
	s_delay_alu instid0(VALU_DEP_2) | instskip(NEXT) | instid1(VALU_DEP_2)
	v_add_f64 v[4:5], v[4:5], v[14:15]
	v_add_f64 v[2:3], v[2:3], v[10:11]
	s_and_not1_b32 exec_lo, exec_lo, s17
	s_cbranch_execnz .LBB18_4
; %bb.5:
	s_or_b32 exec_lo, exec_lo, s17
.LBB18_6:
	s_delay_alu instid0(SALU_CYCLE_1) | instskip(SKIP_2) | instid1(VALU_DEP_1)
	s_or_b32 exec_lo, exec_lo, s16
	v_mbcnt_lo_u32_b32 v10, -1, 0
	s_mov_b32 s3, exec_lo
	v_cmp_ne_u32_e32 vcc_lo, 31, v10
	v_add_co_ci_u32_e32 v6, vcc_lo, 0, v10, vcc_lo
	v_cmp_gt_u32_e32 vcc_lo, 30, v10
	s_delay_alu instid0(VALU_DEP_2)
	v_lshlrev_b32_e32 v9, 2, v6
	ds_bpermute_b32 v6, v9, v4
	ds_bpermute_b32 v7, v9, v5
	;; [unrolled: 1-line block ×4, first 2 shown]
	s_waitcnt lgkmcnt(0)
	v_add_f64 v[4:5], v[4:5], v[6:7]
	v_cndmask_b32_e64 v6, 0, 1, vcc_lo
	v_add_f64 v[2:3], v[2:3], v[8:9]
	v_cmp_gt_u32_e32 vcc_lo, 28, v10
	s_delay_alu instid0(VALU_DEP_3) | instskip(NEXT) | instid1(VALU_DEP_1)
	v_lshlrev_b32_e32 v6, 1, v6
	v_add_lshl_u32 v9, v6, v10, 2
	ds_bpermute_b32 v6, v9, v4
	ds_bpermute_b32 v7, v9, v5
	;; [unrolled: 1-line block ×4, first 2 shown]
	s_waitcnt lgkmcnt(2)
	v_add_f64 v[4:5], v[4:5], v[6:7]
	v_cndmask_b32_e64 v6, 0, 1, vcc_lo
	s_waitcnt lgkmcnt(0)
	v_add_f64 v[2:3], v[2:3], v[8:9]
	v_cmp_gt_u32_e32 vcc_lo, 24, v10
	s_delay_alu instid0(VALU_DEP_3) | instskip(NEXT) | instid1(VALU_DEP_1)
	v_lshlrev_b32_e32 v6, 2, v6
	v_add_lshl_u32 v9, v6, v10, 2
	ds_bpermute_b32 v6, v9, v4
	ds_bpermute_b32 v7, v9, v5
	;; [unrolled: 1-line block ×4, first 2 shown]
	s_waitcnt lgkmcnt(2)
	v_add_f64 v[4:5], v[4:5], v[6:7]
	v_cndmask_b32_e64 v6, 0, 1, vcc_lo
	s_waitcnt lgkmcnt(0)
	v_add_f64 v[2:3], v[2:3], v[8:9]
	v_cmp_gt_u32_e32 vcc_lo, 16, v10
	s_delay_alu instid0(VALU_DEP_3) | instskip(NEXT) | instid1(VALU_DEP_1)
	v_lshlrev_b32_e32 v6, 3, v6
	v_add_lshl_u32 v9, v6, v10, 2
	ds_bpermute_b32 v6, v9, v4
	ds_bpermute_b32 v7, v9, v5
	;; [unrolled: 1-line block ×4, first 2 shown]
	s_waitcnt lgkmcnt(2)
	v_add_f64 v[4:5], v[4:5], v[6:7]
	s_waitcnt lgkmcnt(0)
	v_add_f64 v[6:7], v[2:3], v[8:9]
	v_cndmask_b32_e64 v2, 0, 1, vcc_lo
	s_delay_alu instid0(VALU_DEP_1) | instskip(NEXT) | instid1(VALU_DEP_1)
	v_lshlrev_b32_e32 v2, 4, v2
	v_add_lshl_u32 v9, v2, v10, 2
	ds_bpermute_b32 v2, v9, v4
	ds_bpermute_b32 v3, v9, v5
	;; [unrolled: 1-line block ×4, first 2 shown]
	s_waitcnt lgkmcnt(2)
	v_add_f64 v[2:3], v[4:5], v[2:3]
	s_waitcnt lgkmcnt(0)
	v_add_f64 v[4:5], v[6:7], v[8:9]
	v_dual_mov_b32 v7, 0 :: v_dual_and_b32 v6, 31, v0
	s_delay_alu instid0(VALU_DEP_1)
	v_cmpx_eq_u64_e32 0, v[6:7]
	s_cbranch_execz .LBB18_8
; %bb.7:
	v_lshrrev_b32_e32 v6, 1, v0
	s_delay_alu instid0(VALU_DEP_1)
	v_and_b32_e32 v6, 0xf0, v6
	ds_store_b128 v6, v[2:5]
.LBB18_8:
	s_or_b32 exec_lo, exec_lo, s3
	v_cmp_eq_u32_e32 vcc_lo, 0, v0
	s_waitcnt lgkmcnt(0)
	s_barrier
	buffer_gl0_inv
	s_and_saveexec_b32 s3, vcc_lo
	s_cbranch_execz .LBB18_10
; %bb.9:
	v_mov_b32_e32 v14, 0
	ds_load_b128 v[6:9], v14 offset:16
	ds_load_b128 v[10:13], v14 offset:32
	s_waitcnt lgkmcnt(1)
	v_add_f64 v[2:3], v[2:3], v[6:7]
	v_add_f64 v[4:5], v[4:5], v[8:9]
	s_waitcnt lgkmcnt(0)
	s_delay_alu instid0(VALU_DEP_2) | instskip(NEXT) | instid1(VALU_DEP_2)
	v_add_f64 v[10:11], v[2:3], v[10:11]
	v_add_f64 v[12:13], v[4:5], v[12:13]
	ds_load_b128 v[2:5], v14 offset:48
	ds_load_b128 v[6:9], v14 offset:64
	s_waitcnt lgkmcnt(1)
	v_add_f64 v[2:3], v[10:11], v[2:3]
	v_add_f64 v[4:5], v[12:13], v[4:5]
	s_waitcnt lgkmcnt(0)
	s_delay_alu instid0(VALU_DEP_2) | instskip(NEXT) | instid1(VALU_DEP_2)
	v_add_f64 v[10:11], v[2:3], v[6:7]
	v_add_f64 v[12:13], v[4:5], v[8:9]
	;; [unrolled: 9-line block ×7, first 2 shown]
	ds_load_b128 v[2:5], v14 offset:240
	s_waitcnt lgkmcnt(0)
	v_add_f64 v[2:3], v[6:7], v[2:3]
	v_add_f64 v[4:5], v[8:9], v[4:5]
	ds_store_b128 v14, v[2:5]
.LBB18_10:
	s_or_b32 exec_lo, exec_lo, s3
	s_waitcnt lgkmcnt(0)
	s_barrier
	buffer_gl0_inv
	s_and_saveexec_b32 s21, vcc_lo
	s_cbranch_execz .LBB18_20
; %bb.11:
	s_lshl_b64 s[8:9], s[22:23], 4
	v_mov_b32_e32 v2, 0
	s_add_u32 s6, s6, s8
	s_addc_u32 s7, s7, s9
	s_load_b128 s[24:27], s[0:1], 0x58
	s_load_b64 s[16:17], s[6:7], 0x8
	ds_load_b64 v[8:9], v2
	s_waitcnt lgkmcnt(0)
	s_mul_i32 s0, s20, s27
	v_mul_f64 v[6:7], s[16:17], s[16:17]
	v_max_f64 v[3:4], v[8:9], v[8:9]
	s_mul_hi_u32 s1, s20, s26
	s_delay_alu instid0(SALU_CYCLE_1) | instskip(SKIP_1) | instid1(SALU_CYCLE_1)
	s_add_i32 s1, s1, s0
	s_mul_i32 s0, s20, s26
	s_lshl_b64 s[0:1], s[0:1], 4
	s_delay_alu instid0(SALU_CYCLE_1)
	s_add_u32 s8, s24, s0
	s_addc_u32 s9, s25, s1
	s_cmp_eq_u64 s[18:19], 0
	s_mov_b32 s0, 0
	s_cselect_b32 s20, -1, 0
	s_cmp_lg_u64 s[18:19], 0
	s_cselect_b32 s22, -1, 0
	s_delay_alu instid0(VALU_DEP_1) | instskip(NEXT) | instid1(VALU_DEP_1)
	v_max_f64 v[3:4], v[3:4], v[6:7]
	v_cmp_nlt_f64_e32 vcc_lo, 0, v[3:4]
	s_cbranch_vccz .LBB18_14
; %bb.12:
	v_dual_mov_b32 v3, 0x3ff00000 :: v_dual_mov_b32 v4, v2
	v_mov_b32_e32 v5, v2
	s_mov_b32 s3, 0
	s_and_b32 vcc_lo, exec_lo, s22
	ds_store_b128 v2, v[2:5]
	v_mov_b32_e32 v3, v2
	global_store_b128 v2, v[2:5], s[8:9]
                                        ; implicit-def: $vgpr4_vgpr5
	s_cbranch_vccz .LBB18_15
; %bb.13:
	v_mov_b32_e32 v2, 0
	s_mov_b32 s1, -1
	global_load_b64 v[2:3], v2, s[6:7]
	s_and_b32 vcc_lo, exec_lo, s3
	s_cbranch_vccnz .LBB18_16
	s_branch .LBB18_17
.LBB18_14:
	s_mov_b32 s3, -1
.LBB18_15:
	s_mov_b32 s1, 0
                                        ; implicit-def: $vgpr2_vgpr3
	s_and_b32 vcc_lo, exec_lo, s3
	s_cbranch_vccz .LBB18_17
.LBB18_16:
	v_mov_b32_e32 v42, 0
	global_load_b64 v[4:5], v42, s[6:7]
	s_waitcnt vmcnt(0)
	v_fma_f64 v[2:3], v[4:5], v[4:5], v[6:7]
	s_delay_alu instid0(VALU_DEP_1) | instskip(NEXT) | instid1(VALU_DEP_1)
	v_add_f64 v[2:3], v[8:9], v[2:3]
	v_cmp_gt_f64_e32 vcc_lo, 0x10000000, v[2:3]
	v_cndmask_b32_e64 v8, 0, 1, vcc_lo
	s_and_b32 s0, vcc_lo, exec_lo
	s_cselect_b32 s0, 0xffffff80, 0
	s_delay_alu instid0(VALU_DEP_1) | instskip(NEXT) | instid1(VALU_DEP_1)
	v_lshlrev_b32_e32 v8, 8, v8
	v_ldexp_f64 v[2:3], v[2:3], v8
	s_delay_alu instid0(VALU_DEP_1) | instskip(SKIP_4) | instid1(VALU_DEP_1)
	v_rsq_f64_e32 v[8:9], v[2:3]
	v_cmp_class_f64_e64 vcc_lo, v[2:3], 0x260
	s_waitcnt_depctr 0xfff
	v_mul_f64 v[10:11], v[2:3], v[8:9]
	v_mul_f64 v[8:9], v[8:9], 0.5
	v_fma_f64 v[12:13], -v[8:9], v[10:11], 0.5
	s_delay_alu instid0(VALU_DEP_1) | instskip(SKIP_1) | instid1(VALU_DEP_2)
	v_fma_f64 v[10:11], v[10:11], v[12:13], v[10:11]
	v_fma_f64 v[8:9], v[8:9], v[12:13], v[8:9]
	v_fma_f64 v[12:13], -v[10:11], v[10:11], v[2:3]
	s_delay_alu instid0(VALU_DEP_1) | instskip(NEXT) | instid1(VALU_DEP_1)
	v_fma_f64 v[10:11], v[12:13], v[8:9], v[10:11]
	v_fma_f64 v[12:13], -v[10:11], v[10:11], v[2:3]
	s_delay_alu instid0(VALU_DEP_1) | instskip(NEXT) | instid1(VALU_DEP_1)
	v_fma_f64 v[8:9], v[12:13], v[8:9], v[10:11]
	v_ldexp_f64 v[8:9], v[8:9], s0
	s_delay_alu instid0(VALU_DEP_1) | instskip(SKIP_1) | instid1(VALU_DEP_2)
	v_dual_cndmask_b32 v3, v9, v3 :: v_dual_cndmask_b32 v2, v8, v2
	v_cmp_le_f64_e32 vcc_lo, 0, v[4:5]
	v_xor_b32_e32 v8, 0x80000000, v3
	s_delay_alu instid0(VALU_DEP_1) | instskip(NEXT) | instid1(VALU_DEP_1)
	v_cndmask_b32_e32 v3, v3, v8, vcc_lo
	v_add_f64 v[8:9], v[4:5], -v[2:3]
	v_add_f64 v[10:11], v[2:3], -v[4:5]
	v_div_scale_f64 v[16:17], null, v[2:3], v[2:3], -s[16:17]
	s_delay_alu instid0(VALU_DEP_3) | instskip(NEXT) | instid1(VALU_DEP_3)
	v_fma_f64 v[6:7], v[8:9], v[8:9], v[6:7]
	v_div_scale_f64 v[14:15], null, v[2:3], v[2:3], v[10:11]
	s_delay_alu instid0(VALU_DEP_3) | instskip(NEXT) | instid1(VALU_DEP_2)
	v_rcp_f64_e32 v[24:25], v[16:17]
	v_div_scale_f64 v[4:5], null, v[6:7], v[6:7], v[8:9]
	v_div_scale_f64 v[12:13], null, v[6:7], v[6:7], -s[16:17]
	s_delay_alu instid0(VALU_DEP_3)
	v_rcp_f64_e32 v[22:23], v[14:15]
	s_waitcnt_depctr 0xfff
	v_fma_f64 v[32:33], -v[16:17], v[24:25], 1.0
	v_div_scale_f64 v[34:35], vcc_lo, v[8:9], v[6:7], v[8:9]
	v_rcp_f64_e32 v[18:19], v[4:5]
	v_rcp_f64_e32 v[20:21], v[12:13]
	s_delay_alu instid0(VALU_DEP_2)
	v_fma_f64 v[24:25], v[24:25], v[32:33], v[24:25]
	v_fma_f64 v[30:31], -v[14:15], v[22:23], 1.0
	s_waitcnt_depctr 0xfff
	v_fma_f64 v[26:27], -v[4:5], v[18:19], 1.0
	v_fma_f64 v[28:29], -v[12:13], v[20:21], 1.0
	;; [unrolled: 1-line block ×3, first 2 shown]
	v_fma_f64 v[22:23], v[22:23], v[30:31], v[22:23]
	s_delay_alu instid0(VALU_DEP_4) | instskip(NEXT) | instid1(VALU_DEP_4)
	v_fma_f64 v[18:19], v[18:19], v[26:27], v[18:19]
	v_fma_f64 v[20:21], v[20:21], v[28:29], v[20:21]
	s_delay_alu instid0(VALU_DEP_4) | instskip(NEXT) | instid1(VALU_DEP_4)
	v_fma_f64 v[24:25], v[24:25], v[32:33], v[24:25]
	v_fma_f64 v[30:31], -v[14:15], v[22:23], 1.0
	s_delay_alu instid0(VALU_DEP_4) | instskip(NEXT) | instid1(VALU_DEP_4)
	v_fma_f64 v[26:27], -v[4:5], v[18:19], 1.0
	v_fma_f64 v[28:29], -v[12:13], v[20:21], 1.0
	s_delay_alu instid0(VALU_DEP_3) | instskip(SKIP_1) | instid1(VALU_DEP_4)
	v_fma_f64 v[22:23], v[22:23], v[30:31], v[22:23]
	v_div_scale_f64 v[30:31], s3, -s[16:17], v[2:3], -s[16:17]
	v_fma_f64 v[18:19], v[18:19], v[26:27], v[18:19]
	v_div_scale_f64 v[26:27], s0, -s[16:17], v[6:7], -s[16:17]
	v_fma_f64 v[20:21], v[20:21], v[28:29], v[20:21]
	v_div_scale_f64 v[28:29], s1, v[10:11], v[2:3], v[10:11]
	v_mul_f64 v[40:41], v[30:31], v[24:25]
	v_mul_f64 v[32:33], v[34:35], v[18:19]
	s_delay_alu instid0(VALU_DEP_4) | instskip(NEXT) | instid1(VALU_DEP_4)
	v_mul_f64 v[36:37], v[26:27], v[20:21]
	v_mul_f64 v[38:39], v[28:29], v[22:23]
	s_delay_alu instid0(VALU_DEP_4) | instskip(NEXT) | instid1(VALU_DEP_4)
	v_fma_f64 v[16:17], -v[16:17], v[40:41], v[30:31]
	v_fma_f64 v[4:5], -v[4:5], v[32:33], v[34:35]
	s_delay_alu instid0(VALU_DEP_4) | instskip(NEXT) | instid1(VALU_DEP_4)
	v_fma_f64 v[12:13], -v[12:13], v[36:37], v[26:27]
	v_fma_f64 v[14:15], -v[14:15], v[38:39], v[28:29]
	s_delay_alu instid0(VALU_DEP_3) | instskip(SKIP_2) | instid1(VALU_DEP_3)
	v_div_fmas_f64 v[4:5], v[4:5], v[18:19], v[32:33]
	s_mov_b32 vcc_lo, s0
	s_mov_b32 s0, s20
	v_div_fmas_f64 v[12:13], v[12:13], v[20:21], v[36:37]
	s_mov_b32 vcc_lo, s1
	s_mov_b32 s1, s22
	s_delay_alu instid0(VALU_DEP_3) | instskip(SKIP_2) | instid1(VALU_DEP_4)
	v_div_fmas_f64 v[14:15], v[14:15], v[22:23], v[38:39]
	s_mov_b32 vcc_lo, s3
	v_div_fmas_f64 v[16:17], v[16:17], v[24:25], v[40:41]
	v_div_fixup_f64 v[4:5], v[4:5], v[6:7], v[8:9]
	s_delay_alu instid0(VALU_DEP_4) | instskip(NEXT) | instid1(VALU_DEP_4)
	v_div_fixup_f64 v[6:7], v[12:13], v[6:7], -s[16:17]
	v_div_fixup_f64 v[8:9], v[14:15], v[2:3], v[10:11]
	s_delay_alu instid0(VALU_DEP_4)
	v_div_fixup_f64 v[10:11], v[16:17], v[2:3], -s[16:17]
	ds_store_b128 v42, v[4:7]
	global_store_b128 v42, v[8:11], s[8:9]
.LBB18_17:
	s_and_not1_b32 vcc_lo, exec_lo, s1
	s_cbranch_vccz .LBB18_24
; %bb.18:
	s_and_not1_b32 vcc_lo, exec_lo, s0
	s_cbranch_vccnz .LBB18_20
.LBB18_19:
	v_mov_b32_e32 v4, 0
	s_delay_alu instid0(VALU_DEP_1)
	v_mov_b32_e32 v5, v4
	s_waitcnt vmcnt(0)
	global_store_b128 v4, v[2:5], s[6:7]
.LBB18_20:
	s_or_b32 exec_lo, exec_lo, s21
	s_waitcnt vmcnt(0) lgkmcnt(0)
	s_waitcnt_vscnt null, 0x0
	s_barrier
	buffer_gl0_inv
	s_and_saveexec_b32 s0, s2
	s_cbranch_execz .LBB18_23
; %bb.21:
	v_mad_u64_u32 v[6:7], null, s14, v0, 0
	s_lshl_b64 s[0:1], s[12:13], 4
	s_delay_alu instid0(SALU_CYCLE_1) | instskip(SKIP_2) | instid1(VALU_DEP_1)
	s_add_u32 s0, s10, s0
	s_addc_u32 s1, s11, s1
	s_lshl_b64 s[2:3], s[14:15], 13
	v_mov_b32_e32 v2, v7
	s_delay_alu instid0(VALU_DEP_1) | instskip(NEXT) | instid1(VALU_DEP_1)
	v_mad_u64_u32 v[3:4], null, s15, v0, v[2:3]
	v_dual_mov_b32 v2, 0 :: v_dual_mov_b32 v7, v3
	ds_load_b128 v[2:5], v2
	v_lshlrev_b64 v[6:7], 4, v[6:7]
	s_delay_alu instid0(VALU_DEP_1) | instskip(NEXT) | instid1(VALU_DEP_2)
	v_add_co_u32 v6, vcc_lo, s0, v6
	v_add_co_ci_u32_e32 v7, vcc_lo, s1, v7, vcc_lo
	s_mov_b32 s1, 0
	s_delay_alu instid0(VALU_DEP_2) | instskip(NEXT) | instid1(VALU_DEP_2)
	v_add_co_u32 v6, vcc_lo, v6, 8
	v_add_co_ci_u32_e32 v7, vcc_lo, 0, v7, vcc_lo
	.p2align	6
.LBB18_22:                              ; =>This Inner Loop Header: Depth=1
	global_load_b128 v[8:11], v[6:7], off offset:-8
	v_add_co_u32 v0, vcc_lo, 0x200, v0
	v_add_co_ci_u32_e32 v1, vcc_lo, 0, v1, vcc_lo
	s_delay_alu instid0(VALU_DEP_1) | instskip(SKIP_4) | instid1(VALU_DEP_2)
	v_cmp_le_i64_e32 vcc_lo, s[4:5], v[0:1]
	s_or_b32 s1, vcc_lo, s1
	s_waitcnt vmcnt(0) lgkmcnt(0)
	v_mul_f64 v[12:13], v[4:5], v[10:11]
	v_mul_f64 v[14:15], v[2:3], v[10:11]
	v_fma_f64 v[10:11], v[2:3], v[8:9], -v[12:13]
	s_delay_alu instid0(VALU_DEP_2) | instskip(SKIP_2) | instid1(VALU_DEP_1)
	v_fma_f64 v[12:13], v[4:5], v[8:9], v[14:15]
	global_store_b128 v[6:7], v[10:13], off offset:-8
	v_add_co_u32 v6, s0, v6, s2
	v_add_co_ci_u32_e64 v7, s0, s3, v7, s0
	s_and_not1_b32 exec_lo, exec_lo, s1
	s_cbranch_execnz .LBB18_22
.LBB18_23:
	s_nop 0
	s_sendmsg sendmsg(MSG_DEALLOC_VGPRS)
	s_endpgm
.LBB18_24:
	v_dual_mov_b32 v4, s18 :: v_dual_mov_b32 v5, s19
	s_waitcnt vmcnt(0)
	flat_store_b64 v[4:5], v[2:3]
	v_mov_b32_e32 v2, 0
	v_mov_b32_e32 v3, 0x3ff00000
	s_branch .LBB18_19
	.section	.rodata,"a",@progbits
	.p2align	6, 0x0
	.amdhsa_kernel _ZN9rocsolver6v33100L18larfg_kernel_smallILi512E19rocblas_complex_numIdEldPKPS3_EEvT1_T3_llPT2_llS8_lS7_lPT0_l
		.amdhsa_group_segment_fixed_size 256
		.amdhsa_private_segment_fixed_size 0
		.amdhsa_kernarg_size 104
		.amdhsa_user_sgpr_count 14
		.amdhsa_user_sgpr_dispatch_ptr 0
		.amdhsa_user_sgpr_queue_ptr 0
		.amdhsa_user_sgpr_kernarg_segment_ptr 1
		.amdhsa_user_sgpr_dispatch_id 0
		.amdhsa_user_sgpr_private_segment_size 0
		.amdhsa_wavefront_size32 1
		.amdhsa_uses_dynamic_stack 0
		.amdhsa_enable_private_segment 0
		.amdhsa_system_sgpr_workgroup_id_x 1
		.amdhsa_system_sgpr_workgroup_id_y 0
		.amdhsa_system_sgpr_workgroup_id_z 1
		.amdhsa_system_sgpr_workgroup_info 0
		.amdhsa_system_vgpr_workitem_id 0
		.amdhsa_next_free_vgpr 43
		.amdhsa_next_free_sgpr 28
		.amdhsa_reserve_vcc 1
		.amdhsa_float_round_mode_32 0
		.amdhsa_float_round_mode_16_64 0
		.amdhsa_float_denorm_mode_32 3
		.amdhsa_float_denorm_mode_16_64 3
		.amdhsa_dx10_clamp 1
		.amdhsa_ieee_mode 1
		.amdhsa_fp16_overflow 0
		.amdhsa_workgroup_processor_mode 1
		.amdhsa_memory_ordered 1
		.amdhsa_forward_progress 0
		.amdhsa_shared_vgpr_count 0
		.amdhsa_exception_fp_ieee_invalid_op 0
		.amdhsa_exception_fp_denorm_src 0
		.amdhsa_exception_fp_ieee_div_zero 0
		.amdhsa_exception_fp_ieee_overflow 0
		.amdhsa_exception_fp_ieee_underflow 0
		.amdhsa_exception_fp_ieee_inexact 0
		.amdhsa_exception_int_div_zero 0
	.end_amdhsa_kernel
	.section	.text._ZN9rocsolver6v33100L18larfg_kernel_smallILi512E19rocblas_complex_numIdEldPKPS3_EEvT1_T3_llPT2_llS8_lS7_lPT0_l,"axG",@progbits,_ZN9rocsolver6v33100L18larfg_kernel_smallILi512E19rocblas_complex_numIdEldPKPS3_EEvT1_T3_llPT2_llS8_lS7_lPT0_l,comdat
.Lfunc_end18:
	.size	_ZN9rocsolver6v33100L18larfg_kernel_smallILi512E19rocblas_complex_numIdEldPKPS3_EEvT1_T3_llPT2_llS8_lS7_lPT0_l, .Lfunc_end18-_ZN9rocsolver6v33100L18larfg_kernel_smallILi512E19rocblas_complex_numIdEldPKPS3_EEvT1_T3_llPT2_llS8_lS7_lPT0_l
                                        ; -- End function
	.section	.AMDGPU.csdata,"",@progbits
; Kernel info:
; codeLenInByte = 2660
; NumSgprs: 30
; NumVgprs: 43
; ScratchSize: 0
; MemoryBound: 0
; FloatMode: 240
; IeeeMode: 1
; LDSByteSize: 256 bytes/workgroup (compile time only)
; SGPRBlocks: 3
; VGPRBlocks: 5
; NumSGPRsForWavesPerEU: 30
; NumVGPRsForWavesPerEU: 43
; Occupancy: 16
; WaveLimiterHint : 1
; COMPUTE_PGM_RSRC2:SCRATCH_EN: 0
; COMPUTE_PGM_RSRC2:USER_SGPR: 14
; COMPUTE_PGM_RSRC2:TRAP_HANDLER: 0
; COMPUTE_PGM_RSRC2:TGID_X_EN: 1
; COMPUTE_PGM_RSRC2:TGID_Y_EN: 0
; COMPUTE_PGM_RSRC2:TGID_Z_EN: 1
; COMPUTE_PGM_RSRC2:TIDIG_COMP_CNT: 0
	.section	.text._ZN9rocsolver6v33100L18larfg_kernel_smallILi1024E19rocblas_complex_numIdEldPKPS3_EEvT1_T3_llPT2_llS8_lS7_lPT0_l,"axG",@progbits,_ZN9rocsolver6v33100L18larfg_kernel_smallILi1024E19rocblas_complex_numIdEldPKPS3_EEvT1_T3_llPT2_llS8_lS7_lPT0_l,comdat
	.globl	_ZN9rocsolver6v33100L18larfg_kernel_smallILi1024E19rocblas_complex_numIdEldPKPS3_EEvT1_T3_llPT2_llS8_lS7_lPT0_l ; -- Begin function _ZN9rocsolver6v33100L18larfg_kernel_smallILi1024E19rocblas_complex_numIdEldPKPS3_EEvT1_T3_llPT2_llS8_lS7_lPT0_l
	.p2align	8
	.type	_ZN9rocsolver6v33100L18larfg_kernel_smallILi1024E19rocblas_complex_numIdEldPKPS3_EEvT1_T3_llPT2_llS8_lS7_lPT0_l,@function
_ZN9rocsolver6v33100L18larfg_kernel_smallILi1024E19rocblas_complex_numIdEldPKPS3_EEvT1_T3_llPT2_llS8_lS7_lPT0_l: ; @_ZN9rocsolver6v33100L18larfg_kernel_smallILi1024E19rocblas_complex_numIdEldPKPS3_EEvT1_T3_llPT2_llS8_lS7_lPT0_l
; %bb.0:
	s_clause 0x1
	s_load_b128 s[16:19], s[0:1], 0x0
	s_load_b256 s[4:11], s[0:1], 0x20
	s_mov_b32 s20, s15
	s_mov_b32 s21, 0
	s_load_b64 s[22:23], s[0:1], 0x10
	s_lshl_b64 s[12:13], s[20:21], 3
	s_waitcnt lgkmcnt(0)
	s_add_u32 s2, s18, s12
	s_addc_u32 s3, s19, s13
	s_add_u32 s10, s10, s12
	s_addc_u32 s11, s11, s13
	s_load_b128 s[12:15], s[0:1], 0x40
	s_load_b64 s[10:11], s[10:11], 0x0
	s_cmp_eq_u64 s[4:5], 0
	s_mov_b64 s[18:19], 0
	s_cbranch_scc1 .LBB19_2
; %bb.1:
	s_mul_i32 s9, s20, s9
	s_mul_hi_u32 s18, s20, s8
	s_mul_i32 s8, s20, s8
	s_add_i32 s9, s18, s9
	s_delay_alu instid0(SALU_CYCLE_1) | instskip(NEXT) | instid1(SALU_CYCLE_1)
	s_lshl_b64 s[8:9], s[8:9], 3
	s_add_u32 s8, s4, s8
	s_addc_u32 s9, s5, s9
	s_lshl_b64 s[4:5], s[6:7], 3
	s_delay_alu instid0(SALU_CYCLE_1)
	s_add_u32 s18, s8, s4
	s_addc_u32 s19, s9, s5
.LBB19_2:
	s_load_b64 s[6:7], s[2:3], 0x0
	v_dual_mov_b32 v1, 0 :: v_dual_mov_b32 v2, 0
	v_mov_b32_e32 v3, 0
	s_add_u32 s4, s16, -1
	s_addc_u32 s5, s17, -1
	s_delay_alu instid0(VALU_DEP_2) | instid1(SALU_CYCLE_1)
	v_cmp_gt_i64_e64 s2, s[4:5], v[0:1]
	s_delay_alu instid0(VALU_DEP_2) | instskip(NEXT) | instid1(VALU_DEP_2)
	v_dual_mov_b32 v5, v3 :: v_dual_mov_b32 v4, v2
	s_and_saveexec_b32 s16, s2
	s_cbranch_execz .LBB19_6
; %bb.3:
	s_waitcnt lgkmcnt(0)
	v_mad_u64_u32 v[2:3], null, s14, v0, 0
	s_lshl_b64 s[8:9], s[12:13], 4
	s_mov_b32 s17, 0
	s_add_u32 s3, s10, s8
	s_addc_u32 s8, s11, s9
	v_dual_mov_b32 v7, v1 :: v_dual_mov_b32 v6, v0
	s_delay_alu instid0(VALU_DEP_2) | instskip(NEXT) | instid1(VALU_DEP_1)
	v_mad_u64_u32 v[4:5], null, s15, v0, v[3:4]
	v_mov_b32_e32 v3, v4
	s_delay_alu instid0(VALU_DEP_1) | instskip(SKIP_2) | instid1(VALU_DEP_3)
	v_lshlrev_b64 v[4:5], 4, v[2:3]
	v_mov_b32_e32 v2, 0
	v_mov_b32_e32 v3, 0
	v_add_co_u32 v8, vcc_lo, s3, v4
	s_delay_alu instid0(VALU_DEP_4) | instskip(NEXT) | instid1(VALU_DEP_3)
	v_add_co_ci_u32_e32 v9, vcc_lo, s8, v5, vcc_lo
	v_dual_mov_b32 v5, v3 :: v_dual_mov_b32 v4, v2
	s_lshl_b64 s[8:9], s[14:15], 14
	.p2align	6
.LBB19_4:                               ; =>This Inner Loop Header: Depth=1
	global_load_b128 v[10:13], v[8:9], off
	v_add_co_u32 v6, vcc_lo, 0x400, v6
	v_add_co_ci_u32_e32 v7, vcc_lo, 0, v7, vcc_lo
	v_add_co_u32 v8, s3, v8, s8
	s_delay_alu instid0(VALU_DEP_1) | instskip(NEXT) | instid1(VALU_DEP_3)
	v_add_co_ci_u32_e64 v9, s3, s9, v9, s3
	v_cmp_le_i64_e32 vcc_lo, s[4:5], v[6:7]
	s_or_b32 s17, vcc_lo, s17
	s_waitcnt vmcnt(0)
	v_mul_f64 v[14:15], v[12:13], v[12:13]
	v_mul_f64 v[16:17], v[10:11], v[12:13]
	s_delay_alu instid0(VALU_DEP_2) | instskip(NEXT) | instid1(VALU_DEP_2)
	v_fma_f64 v[14:15], v[10:11], v[10:11], v[14:15]
	v_fma_f64 v[10:11], v[10:11], v[12:13], -v[16:17]
	s_delay_alu instid0(VALU_DEP_2) | instskip(NEXT) | instid1(VALU_DEP_2)
	v_add_f64 v[4:5], v[4:5], v[14:15]
	v_add_f64 v[2:3], v[2:3], v[10:11]
	s_and_not1_b32 exec_lo, exec_lo, s17
	s_cbranch_execnz .LBB19_4
; %bb.5:
	s_or_b32 exec_lo, exec_lo, s17
.LBB19_6:
	s_delay_alu instid0(SALU_CYCLE_1) | instskip(SKIP_2) | instid1(VALU_DEP_1)
	s_or_b32 exec_lo, exec_lo, s16
	v_mbcnt_lo_u32_b32 v10, -1, 0
	s_mov_b32 s3, exec_lo
	v_cmp_ne_u32_e32 vcc_lo, 31, v10
	v_add_co_ci_u32_e32 v6, vcc_lo, 0, v10, vcc_lo
	v_cmp_gt_u32_e32 vcc_lo, 30, v10
	s_delay_alu instid0(VALU_DEP_2)
	v_lshlrev_b32_e32 v9, 2, v6
	ds_bpermute_b32 v6, v9, v4
	ds_bpermute_b32 v7, v9, v5
	;; [unrolled: 1-line block ×4, first 2 shown]
	s_waitcnt lgkmcnt(0)
	v_add_f64 v[4:5], v[4:5], v[6:7]
	v_cndmask_b32_e64 v6, 0, 1, vcc_lo
	v_add_f64 v[2:3], v[2:3], v[8:9]
	v_cmp_gt_u32_e32 vcc_lo, 28, v10
	s_delay_alu instid0(VALU_DEP_3) | instskip(NEXT) | instid1(VALU_DEP_1)
	v_lshlrev_b32_e32 v6, 1, v6
	v_add_lshl_u32 v9, v6, v10, 2
	ds_bpermute_b32 v6, v9, v4
	ds_bpermute_b32 v7, v9, v5
	;; [unrolled: 1-line block ×4, first 2 shown]
	s_waitcnt lgkmcnt(2)
	v_add_f64 v[4:5], v[4:5], v[6:7]
	v_cndmask_b32_e64 v6, 0, 1, vcc_lo
	s_waitcnt lgkmcnt(0)
	v_add_f64 v[2:3], v[2:3], v[8:9]
	v_cmp_gt_u32_e32 vcc_lo, 24, v10
	s_delay_alu instid0(VALU_DEP_3) | instskip(NEXT) | instid1(VALU_DEP_1)
	v_lshlrev_b32_e32 v6, 2, v6
	v_add_lshl_u32 v9, v6, v10, 2
	ds_bpermute_b32 v6, v9, v4
	ds_bpermute_b32 v7, v9, v5
	;; [unrolled: 1-line block ×4, first 2 shown]
	s_waitcnt lgkmcnt(2)
	v_add_f64 v[4:5], v[4:5], v[6:7]
	v_cndmask_b32_e64 v6, 0, 1, vcc_lo
	s_waitcnt lgkmcnt(0)
	v_add_f64 v[2:3], v[2:3], v[8:9]
	v_cmp_gt_u32_e32 vcc_lo, 16, v10
	s_delay_alu instid0(VALU_DEP_3) | instskip(NEXT) | instid1(VALU_DEP_1)
	v_lshlrev_b32_e32 v6, 3, v6
	v_add_lshl_u32 v9, v6, v10, 2
	ds_bpermute_b32 v6, v9, v4
	ds_bpermute_b32 v7, v9, v5
	;; [unrolled: 1-line block ×4, first 2 shown]
	s_waitcnt lgkmcnt(2)
	v_add_f64 v[4:5], v[4:5], v[6:7]
	s_waitcnt lgkmcnt(0)
	v_add_f64 v[6:7], v[2:3], v[8:9]
	v_cndmask_b32_e64 v2, 0, 1, vcc_lo
	s_delay_alu instid0(VALU_DEP_1) | instskip(NEXT) | instid1(VALU_DEP_1)
	v_lshlrev_b32_e32 v2, 4, v2
	v_add_lshl_u32 v9, v2, v10, 2
	ds_bpermute_b32 v2, v9, v4
	ds_bpermute_b32 v3, v9, v5
	;; [unrolled: 1-line block ×4, first 2 shown]
	s_waitcnt lgkmcnt(2)
	v_add_f64 v[2:3], v[4:5], v[2:3]
	s_waitcnt lgkmcnt(0)
	v_add_f64 v[4:5], v[6:7], v[8:9]
	v_dual_mov_b32 v7, 0 :: v_dual_and_b32 v6, 31, v0
	s_delay_alu instid0(VALU_DEP_1)
	v_cmpx_eq_u64_e32 0, v[6:7]
	s_cbranch_execz .LBB19_8
; %bb.7:
	v_lshrrev_b32_e32 v6, 1, v0
	s_delay_alu instid0(VALU_DEP_1)
	v_and_b32_e32 v6, 0x1f0, v6
	ds_store_b128 v6, v[2:5]
.LBB19_8:
	s_or_b32 exec_lo, exec_lo, s3
	v_cmp_eq_u32_e32 vcc_lo, 0, v0
	s_waitcnt lgkmcnt(0)
	s_barrier
	buffer_gl0_inv
	s_and_saveexec_b32 s3, vcc_lo
	s_cbranch_execz .LBB19_10
; %bb.9:
	v_mov_b32_e32 v14, 0
	ds_load_b128 v[6:9], v14 offset:16
	ds_load_b128 v[10:13], v14 offset:32
	s_waitcnt lgkmcnt(1)
	v_add_f64 v[2:3], v[2:3], v[6:7]
	v_add_f64 v[4:5], v[4:5], v[8:9]
	s_waitcnt lgkmcnt(0)
	s_delay_alu instid0(VALU_DEP_2) | instskip(NEXT) | instid1(VALU_DEP_2)
	v_add_f64 v[10:11], v[2:3], v[10:11]
	v_add_f64 v[12:13], v[4:5], v[12:13]
	ds_load_b128 v[2:5], v14 offset:48
	ds_load_b128 v[6:9], v14 offset:64
	s_waitcnt lgkmcnt(1)
	v_add_f64 v[2:3], v[10:11], v[2:3]
	v_add_f64 v[4:5], v[12:13], v[4:5]
	s_waitcnt lgkmcnt(0)
	s_delay_alu instid0(VALU_DEP_2) | instskip(NEXT) | instid1(VALU_DEP_2)
	v_add_f64 v[10:11], v[2:3], v[6:7]
	v_add_f64 v[12:13], v[4:5], v[8:9]
	;; [unrolled: 9-line block ×15, first 2 shown]
	ds_load_b128 v[2:5], v14 offset:496
	s_waitcnt lgkmcnt(0)
	v_add_f64 v[2:3], v[6:7], v[2:3]
	v_add_f64 v[4:5], v[8:9], v[4:5]
	ds_store_b128 v14, v[2:5]
.LBB19_10:
	s_or_b32 exec_lo, exec_lo, s3
	s_waitcnt lgkmcnt(0)
	s_barrier
	buffer_gl0_inv
	s_and_saveexec_b32 s21, vcc_lo
	s_cbranch_execz .LBB19_20
; %bb.11:
	s_lshl_b64 s[8:9], s[22:23], 4
	v_mov_b32_e32 v2, 0
	s_add_u32 s6, s6, s8
	s_addc_u32 s7, s7, s9
	s_load_b128 s[24:27], s[0:1], 0x58
	s_load_b64 s[16:17], s[6:7], 0x8
	ds_load_b64 v[8:9], v2
	s_waitcnt lgkmcnt(0)
	s_mul_i32 s0, s20, s27
	v_mul_f64 v[6:7], s[16:17], s[16:17]
	v_max_f64 v[3:4], v[8:9], v[8:9]
	s_mul_hi_u32 s1, s20, s26
	s_delay_alu instid0(SALU_CYCLE_1) | instskip(SKIP_1) | instid1(SALU_CYCLE_1)
	s_add_i32 s1, s1, s0
	s_mul_i32 s0, s20, s26
	s_lshl_b64 s[0:1], s[0:1], 4
	s_delay_alu instid0(SALU_CYCLE_1)
	s_add_u32 s8, s24, s0
	s_addc_u32 s9, s25, s1
	s_cmp_eq_u64 s[18:19], 0
	s_mov_b32 s0, 0
	s_cselect_b32 s20, -1, 0
	s_cmp_lg_u64 s[18:19], 0
	s_cselect_b32 s22, -1, 0
	s_delay_alu instid0(VALU_DEP_1) | instskip(NEXT) | instid1(VALU_DEP_1)
	v_max_f64 v[3:4], v[3:4], v[6:7]
	v_cmp_nlt_f64_e32 vcc_lo, 0, v[3:4]
	s_cbranch_vccz .LBB19_14
; %bb.12:
	v_dual_mov_b32 v3, 0x3ff00000 :: v_dual_mov_b32 v4, v2
	v_mov_b32_e32 v5, v2
	s_mov_b32 s3, 0
	s_and_b32 vcc_lo, exec_lo, s22
	ds_store_b128 v2, v[2:5]
	v_mov_b32_e32 v3, v2
	global_store_b128 v2, v[2:5], s[8:9]
                                        ; implicit-def: $vgpr4_vgpr5
	s_cbranch_vccz .LBB19_15
; %bb.13:
	v_mov_b32_e32 v2, 0
	s_mov_b32 s1, -1
	global_load_b64 v[2:3], v2, s[6:7]
	s_and_b32 vcc_lo, exec_lo, s3
	s_cbranch_vccnz .LBB19_16
	s_branch .LBB19_17
.LBB19_14:
	s_mov_b32 s3, -1
.LBB19_15:
	s_mov_b32 s1, 0
                                        ; implicit-def: $vgpr2_vgpr3
	s_and_b32 vcc_lo, exec_lo, s3
	s_cbranch_vccz .LBB19_17
.LBB19_16:
	v_mov_b32_e32 v42, 0
	global_load_b64 v[4:5], v42, s[6:7]
	s_waitcnt vmcnt(0)
	v_fma_f64 v[2:3], v[4:5], v[4:5], v[6:7]
	s_delay_alu instid0(VALU_DEP_1) | instskip(NEXT) | instid1(VALU_DEP_1)
	v_add_f64 v[2:3], v[8:9], v[2:3]
	v_cmp_gt_f64_e32 vcc_lo, 0x10000000, v[2:3]
	v_cndmask_b32_e64 v8, 0, 1, vcc_lo
	s_and_b32 s0, vcc_lo, exec_lo
	s_cselect_b32 s0, 0xffffff80, 0
	s_delay_alu instid0(VALU_DEP_1) | instskip(NEXT) | instid1(VALU_DEP_1)
	v_lshlrev_b32_e32 v8, 8, v8
	v_ldexp_f64 v[2:3], v[2:3], v8
	s_delay_alu instid0(VALU_DEP_1) | instskip(SKIP_4) | instid1(VALU_DEP_1)
	v_rsq_f64_e32 v[8:9], v[2:3]
	v_cmp_class_f64_e64 vcc_lo, v[2:3], 0x260
	s_waitcnt_depctr 0xfff
	v_mul_f64 v[10:11], v[2:3], v[8:9]
	v_mul_f64 v[8:9], v[8:9], 0.5
	v_fma_f64 v[12:13], -v[8:9], v[10:11], 0.5
	s_delay_alu instid0(VALU_DEP_1) | instskip(SKIP_1) | instid1(VALU_DEP_2)
	v_fma_f64 v[10:11], v[10:11], v[12:13], v[10:11]
	v_fma_f64 v[8:9], v[8:9], v[12:13], v[8:9]
	v_fma_f64 v[12:13], -v[10:11], v[10:11], v[2:3]
	s_delay_alu instid0(VALU_DEP_1) | instskip(NEXT) | instid1(VALU_DEP_1)
	v_fma_f64 v[10:11], v[12:13], v[8:9], v[10:11]
	v_fma_f64 v[12:13], -v[10:11], v[10:11], v[2:3]
	s_delay_alu instid0(VALU_DEP_1) | instskip(NEXT) | instid1(VALU_DEP_1)
	v_fma_f64 v[8:9], v[12:13], v[8:9], v[10:11]
	v_ldexp_f64 v[8:9], v[8:9], s0
	s_delay_alu instid0(VALU_DEP_1) | instskip(SKIP_1) | instid1(VALU_DEP_2)
	v_dual_cndmask_b32 v3, v9, v3 :: v_dual_cndmask_b32 v2, v8, v2
	v_cmp_le_f64_e32 vcc_lo, 0, v[4:5]
	v_xor_b32_e32 v8, 0x80000000, v3
	s_delay_alu instid0(VALU_DEP_1) | instskip(NEXT) | instid1(VALU_DEP_1)
	v_cndmask_b32_e32 v3, v3, v8, vcc_lo
	v_add_f64 v[8:9], v[4:5], -v[2:3]
	v_add_f64 v[10:11], v[2:3], -v[4:5]
	v_div_scale_f64 v[16:17], null, v[2:3], v[2:3], -s[16:17]
	s_delay_alu instid0(VALU_DEP_3) | instskip(NEXT) | instid1(VALU_DEP_3)
	v_fma_f64 v[6:7], v[8:9], v[8:9], v[6:7]
	v_div_scale_f64 v[14:15], null, v[2:3], v[2:3], v[10:11]
	s_delay_alu instid0(VALU_DEP_3) | instskip(NEXT) | instid1(VALU_DEP_2)
	v_rcp_f64_e32 v[24:25], v[16:17]
	v_div_scale_f64 v[4:5], null, v[6:7], v[6:7], v[8:9]
	v_div_scale_f64 v[12:13], null, v[6:7], v[6:7], -s[16:17]
	s_delay_alu instid0(VALU_DEP_3)
	v_rcp_f64_e32 v[22:23], v[14:15]
	s_waitcnt_depctr 0xfff
	v_fma_f64 v[32:33], -v[16:17], v[24:25], 1.0
	v_div_scale_f64 v[34:35], vcc_lo, v[8:9], v[6:7], v[8:9]
	v_rcp_f64_e32 v[18:19], v[4:5]
	v_rcp_f64_e32 v[20:21], v[12:13]
	s_delay_alu instid0(VALU_DEP_2)
	v_fma_f64 v[24:25], v[24:25], v[32:33], v[24:25]
	v_fma_f64 v[30:31], -v[14:15], v[22:23], 1.0
	s_waitcnt_depctr 0xfff
	v_fma_f64 v[26:27], -v[4:5], v[18:19], 1.0
	v_fma_f64 v[28:29], -v[12:13], v[20:21], 1.0
	;; [unrolled: 1-line block ×3, first 2 shown]
	v_fma_f64 v[22:23], v[22:23], v[30:31], v[22:23]
	s_delay_alu instid0(VALU_DEP_4) | instskip(NEXT) | instid1(VALU_DEP_4)
	v_fma_f64 v[18:19], v[18:19], v[26:27], v[18:19]
	v_fma_f64 v[20:21], v[20:21], v[28:29], v[20:21]
	s_delay_alu instid0(VALU_DEP_4) | instskip(NEXT) | instid1(VALU_DEP_4)
	v_fma_f64 v[24:25], v[24:25], v[32:33], v[24:25]
	v_fma_f64 v[30:31], -v[14:15], v[22:23], 1.0
	s_delay_alu instid0(VALU_DEP_4) | instskip(NEXT) | instid1(VALU_DEP_4)
	v_fma_f64 v[26:27], -v[4:5], v[18:19], 1.0
	v_fma_f64 v[28:29], -v[12:13], v[20:21], 1.0
	s_delay_alu instid0(VALU_DEP_3) | instskip(SKIP_1) | instid1(VALU_DEP_4)
	v_fma_f64 v[22:23], v[22:23], v[30:31], v[22:23]
	v_div_scale_f64 v[30:31], s3, -s[16:17], v[2:3], -s[16:17]
	v_fma_f64 v[18:19], v[18:19], v[26:27], v[18:19]
	v_div_scale_f64 v[26:27], s0, -s[16:17], v[6:7], -s[16:17]
	v_fma_f64 v[20:21], v[20:21], v[28:29], v[20:21]
	v_div_scale_f64 v[28:29], s1, v[10:11], v[2:3], v[10:11]
	v_mul_f64 v[40:41], v[30:31], v[24:25]
	v_mul_f64 v[32:33], v[34:35], v[18:19]
	s_delay_alu instid0(VALU_DEP_4) | instskip(NEXT) | instid1(VALU_DEP_4)
	v_mul_f64 v[36:37], v[26:27], v[20:21]
	v_mul_f64 v[38:39], v[28:29], v[22:23]
	s_delay_alu instid0(VALU_DEP_4) | instskip(NEXT) | instid1(VALU_DEP_4)
	v_fma_f64 v[16:17], -v[16:17], v[40:41], v[30:31]
	v_fma_f64 v[4:5], -v[4:5], v[32:33], v[34:35]
	s_delay_alu instid0(VALU_DEP_4) | instskip(NEXT) | instid1(VALU_DEP_4)
	v_fma_f64 v[12:13], -v[12:13], v[36:37], v[26:27]
	v_fma_f64 v[14:15], -v[14:15], v[38:39], v[28:29]
	s_delay_alu instid0(VALU_DEP_3) | instskip(SKIP_2) | instid1(VALU_DEP_3)
	v_div_fmas_f64 v[4:5], v[4:5], v[18:19], v[32:33]
	s_mov_b32 vcc_lo, s0
	s_mov_b32 s0, s20
	v_div_fmas_f64 v[12:13], v[12:13], v[20:21], v[36:37]
	s_mov_b32 vcc_lo, s1
	s_mov_b32 s1, s22
	s_delay_alu instid0(VALU_DEP_3) | instskip(SKIP_2) | instid1(VALU_DEP_4)
	v_div_fmas_f64 v[14:15], v[14:15], v[22:23], v[38:39]
	s_mov_b32 vcc_lo, s3
	v_div_fmas_f64 v[16:17], v[16:17], v[24:25], v[40:41]
	v_div_fixup_f64 v[4:5], v[4:5], v[6:7], v[8:9]
	s_delay_alu instid0(VALU_DEP_4) | instskip(NEXT) | instid1(VALU_DEP_4)
	v_div_fixup_f64 v[6:7], v[12:13], v[6:7], -s[16:17]
	v_div_fixup_f64 v[8:9], v[14:15], v[2:3], v[10:11]
	s_delay_alu instid0(VALU_DEP_4)
	v_div_fixup_f64 v[10:11], v[16:17], v[2:3], -s[16:17]
	ds_store_b128 v42, v[4:7]
	global_store_b128 v42, v[8:11], s[8:9]
.LBB19_17:
	s_and_not1_b32 vcc_lo, exec_lo, s1
	s_cbranch_vccz .LBB19_24
; %bb.18:
	s_and_not1_b32 vcc_lo, exec_lo, s0
	s_cbranch_vccnz .LBB19_20
.LBB19_19:
	v_mov_b32_e32 v4, 0
	s_delay_alu instid0(VALU_DEP_1)
	v_mov_b32_e32 v5, v4
	s_waitcnt vmcnt(0)
	global_store_b128 v4, v[2:5], s[6:7]
.LBB19_20:
	s_or_b32 exec_lo, exec_lo, s21
	s_waitcnt vmcnt(0) lgkmcnt(0)
	s_waitcnt_vscnt null, 0x0
	s_barrier
	buffer_gl0_inv
	s_and_saveexec_b32 s0, s2
	s_cbranch_execz .LBB19_23
; %bb.21:
	v_mad_u64_u32 v[6:7], null, s14, v0, 0
	s_lshl_b64 s[0:1], s[12:13], 4
	s_delay_alu instid0(SALU_CYCLE_1) | instskip(SKIP_2) | instid1(VALU_DEP_1)
	s_add_u32 s0, s10, s0
	s_addc_u32 s1, s11, s1
	s_lshl_b64 s[2:3], s[14:15], 14
	v_mov_b32_e32 v2, v7
	s_delay_alu instid0(VALU_DEP_1) | instskip(NEXT) | instid1(VALU_DEP_1)
	v_mad_u64_u32 v[3:4], null, s15, v0, v[2:3]
	v_dual_mov_b32 v2, 0 :: v_dual_mov_b32 v7, v3
	ds_load_b128 v[2:5], v2
	v_lshlrev_b64 v[6:7], 4, v[6:7]
	s_delay_alu instid0(VALU_DEP_1) | instskip(NEXT) | instid1(VALU_DEP_2)
	v_add_co_u32 v6, vcc_lo, s0, v6
	v_add_co_ci_u32_e32 v7, vcc_lo, s1, v7, vcc_lo
	s_mov_b32 s1, 0
	s_delay_alu instid0(VALU_DEP_2) | instskip(NEXT) | instid1(VALU_DEP_2)
	v_add_co_u32 v6, vcc_lo, v6, 8
	v_add_co_ci_u32_e32 v7, vcc_lo, 0, v7, vcc_lo
	.p2align	6
.LBB19_22:                              ; =>This Inner Loop Header: Depth=1
	global_load_b128 v[8:11], v[6:7], off offset:-8
	v_add_co_u32 v0, vcc_lo, 0x400, v0
	v_add_co_ci_u32_e32 v1, vcc_lo, 0, v1, vcc_lo
	s_delay_alu instid0(VALU_DEP_1) | instskip(SKIP_4) | instid1(VALU_DEP_2)
	v_cmp_le_i64_e32 vcc_lo, s[4:5], v[0:1]
	s_or_b32 s1, vcc_lo, s1
	s_waitcnt vmcnt(0) lgkmcnt(0)
	v_mul_f64 v[12:13], v[4:5], v[10:11]
	v_mul_f64 v[14:15], v[2:3], v[10:11]
	v_fma_f64 v[10:11], v[2:3], v[8:9], -v[12:13]
	s_delay_alu instid0(VALU_DEP_2) | instskip(SKIP_2) | instid1(VALU_DEP_1)
	v_fma_f64 v[12:13], v[4:5], v[8:9], v[14:15]
	global_store_b128 v[6:7], v[10:13], off offset:-8
	v_add_co_u32 v6, s0, v6, s2
	v_add_co_ci_u32_e64 v7, s0, s3, v7, s0
	s_and_not1_b32 exec_lo, exec_lo, s1
	s_cbranch_execnz .LBB19_22
.LBB19_23:
	s_nop 0
	s_sendmsg sendmsg(MSG_DEALLOC_VGPRS)
	s_endpgm
.LBB19_24:
	v_dual_mov_b32 v4, s18 :: v_dual_mov_b32 v5, s19
	s_waitcnt vmcnt(0)
	flat_store_b64 v[4:5], v[2:3]
	v_mov_b32_e32 v2, 0
	v_mov_b32_e32 v3, 0x3ff00000
	s_branch .LBB19_19
	.section	.rodata,"a",@progbits
	.p2align	6, 0x0
	.amdhsa_kernel _ZN9rocsolver6v33100L18larfg_kernel_smallILi1024E19rocblas_complex_numIdEldPKPS3_EEvT1_T3_llPT2_llS8_lS7_lPT0_l
		.amdhsa_group_segment_fixed_size 512
		.amdhsa_private_segment_fixed_size 0
		.amdhsa_kernarg_size 104
		.amdhsa_user_sgpr_count 14
		.amdhsa_user_sgpr_dispatch_ptr 0
		.amdhsa_user_sgpr_queue_ptr 0
		.amdhsa_user_sgpr_kernarg_segment_ptr 1
		.amdhsa_user_sgpr_dispatch_id 0
		.amdhsa_user_sgpr_private_segment_size 0
		.amdhsa_wavefront_size32 1
		.amdhsa_uses_dynamic_stack 0
		.amdhsa_enable_private_segment 0
		.amdhsa_system_sgpr_workgroup_id_x 1
		.amdhsa_system_sgpr_workgroup_id_y 0
		.amdhsa_system_sgpr_workgroup_id_z 1
		.amdhsa_system_sgpr_workgroup_info 0
		.amdhsa_system_vgpr_workitem_id 0
		.amdhsa_next_free_vgpr 43
		.amdhsa_next_free_sgpr 28
		.amdhsa_reserve_vcc 1
		.amdhsa_float_round_mode_32 0
		.amdhsa_float_round_mode_16_64 0
		.amdhsa_float_denorm_mode_32 3
		.amdhsa_float_denorm_mode_16_64 3
		.amdhsa_dx10_clamp 1
		.amdhsa_ieee_mode 1
		.amdhsa_fp16_overflow 0
		.amdhsa_workgroup_processor_mode 1
		.amdhsa_memory_ordered 1
		.amdhsa_forward_progress 0
		.amdhsa_shared_vgpr_count 0
		.amdhsa_exception_fp_ieee_invalid_op 0
		.amdhsa_exception_fp_denorm_src 0
		.amdhsa_exception_fp_ieee_div_zero 0
		.amdhsa_exception_fp_ieee_overflow 0
		.amdhsa_exception_fp_ieee_underflow 0
		.amdhsa_exception_fp_ieee_inexact 0
		.amdhsa_exception_int_div_zero 0
	.end_amdhsa_kernel
	.section	.text._ZN9rocsolver6v33100L18larfg_kernel_smallILi1024E19rocblas_complex_numIdEldPKPS3_EEvT1_T3_llPT2_llS8_lS7_lPT0_l,"axG",@progbits,_ZN9rocsolver6v33100L18larfg_kernel_smallILi1024E19rocblas_complex_numIdEldPKPS3_EEvT1_T3_llPT2_llS8_lS7_lPT0_l,comdat
.Lfunc_end19:
	.size	_ZN9rocsolver6v33100L18larfg_kernel_smallILi1024E19rocblas_complex_numIdEldPKPS3_EEvT1_T3_llPT2_llS8_lS7_lPT0_l, .Lfunc_end19-_ZN9rocsolver6v33100L18larfg_kernel_smallILi1024E19rocblas_complex_numIdEldPKPS3_EEvT1_T3_llPT2_llS8_lS7_lPT0_l
                                        ; -- End function
	.section	.AMDGPU.csdata,"",@progbits
; Kernel info:
; codeLenInByte = 3140
; NumSgprs: 30
; NumVgprs: 43
; ScratchSize: 0
; MemoryBound: 0
; FloatMode: 240
; IeeeMode: 1
; LDSByteSize: 512 bytes/workgroup (compile time only)
; SGPRBlocks: 3
; VGPRBlocks: 5
; NumSGPRsForWavesPerEU: 30
; NumVGPRsForWavesPerEU: 43
; Occupancy: 16
; WaveLimiterHint : 1
; COMPUTE_PGM_RSRC2:SCRATCH_EN: 0
; COMPUTE_PGM_RSRC2:USER_SGPR: 14
; COMPUTE_PGM_RSRC2:TRAP_HANDLER: 0
; COMPUTE_PGM_RSRC2:TGID_X_EN: 1
; COMPUTE_PGM_RSRC2:TGID_Y_EN: 0
; COMPUTE_PGM_RSRC2:TGID_Z_EN: 1
; COMPUTE_PGM_RSRC2:TIDIG_COMP_CNT: 0
	.text
	.p2alignl 7, 3214868480
	.fill 96, 4, 3214868480
	.type	__hip_cuid_5d66378c6ccf781c,@object ; @__hip_cuid_5d66378c6ccf781c
	.section	.bss,"aw",@nobits
	.globl	__hip_cuid_5d66378c6ccf781c
__hip_cuid_5d66378c6ccf781c:
	.byte	0                               ; 0x0
	.size	__hip_cuid_5d66378c6ccf781c, 1

	.ident	"AMD clang version 19.0.0git (https://github.com/RadeonOpenCompute/llvm-project roc-6.4.0 25133 c7fe45cf4b819c5991fe208aaa96edf142730f1d)"
	.section	".note.GNU-stack","",@progbits
	.addrsig
	.addrsig_sym __hip_cuid_5d66378c6ccf781c
	.amdgpu_metadata
---
amdhsa.kernels:
  - .args:
      - .offset:         0
        .size:           4
        .value_kind:     by_value
      - .address_space:  global
        .offset:         8
        .size:           8
        .value_kind:     global_buffer
      - .offset:         16
        .size:           8
        .value_kind:     by_value
      - .offset:         24
        .size:           8
        .value_kind:     by_value
      - .address_space:  global
        .offset:         32
        .size:           8
        .value_kind:     global_buffer
      - .offset:         40
        .size:           8
        .value_kind:     by_value
      - .offset:         48
        .size:           8
        .value_kind:     by_value
      - .address_space:  global
        .offset:         56
        .size:           8
        .value_kind:     global_buffer
      - .offset:         64
        .size:           8
        .value_kind:     by_value
      - .offset:         72
        .size:           4
        .value_kind:     by_value
      - .offset:         80
        .size:           8
        .value_kind:     by_value
      - .address_space:  global
        .offset:         88
        .size:           8
        .value_kind:     global_buffer
      - .offset:         96
        .size:           8
        .value_kind:     by_value
    .group_segment_fixed_size: 32
    .kernarg_segment_align: 8
    .kernarg_segment_size: 104
    .language:       OpenCL C
    .language_version:
      - 2
      - 0
    .max_flat_workgroup_size: 64
    .name:           _ZN9rocsolver6v33100L18larfg_kernel_smallILi64E19rocblas_complex_numIdEidPS3_EEvT1_T3_llPT2_llS6_lS5_lPT0_l
    .private_segment_fixed_size: 0
    .sgpr_count:     36
    .sgpr_spill_count: 0
    .symbol:         _ZN9rocsolver6v33100L18larfg_kernel_smallILi64E19rocblas_complex_numIdEidPS3_EEvT1_T3_llPT2_llS6_lS5_lPT0_l.kd
    .uniform_work_group_size: 1
    .uses_dynamic_stack: false
    .vgpr_count:     42
    .vgpr_spill_count: 0
    .wavefront_size: 32
    .workgroup_processor_mode: 1
  - .args:
      - .offset:         0
        .size:           4
        .value_kind:     by_value
      - .address_space:  global
        .offset:         8
        .size:           8
        .value_kind:     global_buffer
      - .offset:         16
        .size:           8
        .value_kind:     by_value
      - .offset:         24
        .size:           8
        .value_kind:     by_value
      - .address_space:  global
        .offset:         32
        .size:           8
        .value_kind:     global_buffer
      - .offset:         40
        .size:           8
        .value_kind:     by_value
      - .offset:         48
        .size:           8
        .value_kind:     by_value
      - .address_space:  global
        .offset:         56
        .size:           8
        .value_kind:     global_buffer
      - .offset:         64
        .size:           8
        .value_kind:     by_value
      - .offset:         72
        .size:           4
        .value_kind:     by_value
      - .offset:         80
        .size:           8
        .value_kind:     by_value
      - .address_space:  global
        .offset:         88
        .size:           8
        .value_kind:     global_buffer
      - .offset:         96
        .size:           8
        .value_kind:     by_value
    .group_segment_fixed_size: 64
    .kernarg_segment_align: 8
    .kernarg_segment_size: 104
    .language:       OpenCL C
    .language_version:
      - 2
      - 0
    .max_flat_workgroup_size: 128
    .name:           _ZN9rocsolver6v33100L18larfg_kernel_smallILi128E19rocblas_complex_numIdEidPS3_EEvT1_T3_llPT2_llS6_lS5_lPT0_l
    .private_segment_fixed_size: 0
    .sgpr_count:     36
    .sgpr_spill_count: 0
    .symbol:         _ZN9rocsolver6v33100L18larfg_kernel_smallILi128E19rocblas_complex_numIdEidPS3_EEvT1_T3_llPT2_llS6_lS5_lPT0_l.kd
    .uniform_work_group_size: 1
    .uses_dynamic_stack: false
    .vgpr_count:     42
    .vgpr_spill_count: 0
    .wavefront_size: 32
    .workgroup_processor_mode: 1
  - .args:
      - .offset:         0
        .size:           4
        .value_kind:     by_value
      - .address_space:  global
        .offset:         8
        .size:           8
        .value_kind:     global_buffer
      - .offset:         16
        .size:           8
        .value_kind:     by_value
      - .offset:         24
        .size:           8
        .value_kind:     by_value
      - .address_space:  global
        .offset:         32
        .size:           8
        .value_kind:     global_buffer
      - .offset:         40
        .size:           8
        .value_kind:     by_value
      - .offset:         48
        .size:           8
        .value_kind:     by_value
      - .address_space:  global
        .offset:         56
        .size:           8
        .value_kind:     global_buffer
      - .offset:         64
        .size:           8
        .value_kind:     by_value
      - .offset:         72
        .size:           4
        .value_kind:     by_value
      - .offset:         80
        .size:           8
        .value_kind:     by_value
      - .address_space:  global
        .offset:         88
        .size:           8
        .value_kind:     global_buffer
      - .offset:         96
        .size:           8
        .value_kind:     by_value
    .group_segment_fixed_size: 128
    .kernarg_segment_align: 8
    .kernarg_segment_size: 104
    .language:       OpenCL C
    .language_version:
      - 2
      - 0
    .max_flat_workgroup_size: 256
    .name:           _ZN9rocsolver6v33100L18larfg_kernel_smallILi256E19rocblas_complex_numIdEidPS3_EEvT1_T3_llPT2_llS6_lS5_lPT0_l
    .private_segment_fixed_size: 0
    .sgpr_count:     36
    .sgpr_spill_count: 0
    .symbol:         _ZN9rocsolver6v33100L18larfg_kernel_smallILi256E19rocblas_complex_numIdEidPS3_EEvT1_T3_llPT2_llS6_lS5_lPT0_l.kd
    .uniform_work_group_size: 1
    .uses_dynamic_stack: false
    .vgpr_count:     42
    .vgpr_spill_count: 0
    .wavefront_size: 32
    .workgroup_processor_mode: 1
  - .args:
      - .offset:         0
        .size:           4
        .value_kind:     by_value
      - .address_space:  global
        .offset:         8
        .size:           8
        .value_kind:     global_buffer
      - .offset:         16
        .size:           8
        .value_kind:     by_value
      - .offset:         24
        .size:           8
        .value_kind:     by_value
      - .address_space:  global
        .offset:         32
        .size:           8
        .value_kind:     global_buffer
      - .offset:         40
        .size:           8
        .value_kind:     by_value
      - .offset:         48
        .size:           8
        .value_kind:     by_value
      - .address_space:  global
        .offset:         56
        .size:           8
        .value_kind:     global_buffer
      - .offset:         64
        .size:           8
        .value_kind:     by_value
      - .offset:         72
        .size:           4
        .value_kind:     by_value
      - .offset:         80
        .size:           8
        .value_kind:     by_value
      - .address_space:  global
        .offset:         88
        .size:           8
        .value_kind:     global_buffer
      - .offset:         96
        .size:           8
        .value_kind:     by_value
    .group_segment_fixed_size: 256
    .kernarg_segment_align: 8
    .kernarg_segment_size: 104
    .language:       OpenCL C
    .language_version:
      - 2
      - 0
    .max_flat_workgroup_size: 512
    .name:           _ZN9rocsolver6v33100L18larfg_kernel_smallILi512E19rocblas_complex_numIdEidPS3_EEvT1_T3_llPT2_llS6_lS5_lPT0_l
    .private_segment_fixed_size: 0
    .sgpr_count:     36
    .sgpr_spill_count: 0
    .symbol:         _ZN9rocsolver6v33100L18larfg_kernel_smallILi512E19rocblas_complex_numIdEidPS3_EEvT1_T3_llPT2_llS6_lS5_lPT0_l.kd
    .uniform_work_group_size: 1
    .uses_dynamic_stack: false
    .vgpr_count:     42
    .vgpr_spill_count: 0
    .wavefront_size: 32
    .workgroup_processor_mode: 1
  - .args:
      - .offset:         0
        .size:           4
        .value_kind:     by_value
      - .address_space:  global
        .offset:         8
        .size:           8
        .value_kind:     global_buffer
      - .offset:         16
        .size:           8
        .value_kind:     by_value
      - .offset:         24
        .size:           8
        .value_kind:     by_value
      - .address_space:  global
        .offset:         32
        .size:           8
        .value_kind:     global_buffer
      - .offset:         40
        .size:           8
        .value_kind:     by_value
      - .offset:         48
        .size:           8
        .value_kind:     by_value
      - .address_space:  global
        .offset:         56
        .size:           8
        .value_kind:     global_buffer
      - .offset:         64
        .size:           8
        .value_kind:     by_value
      - .offset:         72
        .size:           4
        .value_kind:     by_value
      - .offset:         80
        .size:           8
        .value_kind:     by_value
      - .address_space:  global
        .offset:         88
        .size:           8
        .value_kind:     global_buffer
      - .offset:         96
        .size:           8
        .value_kind:     by_value
    .group_segment_fixed_size: 512
    .kernarg_segment_align: 8
    .kernarg_segment_size: 104
    .language:       OpenCL C
    .language_version:
      - 2
      - 0
    .max_flat_workgroup_size: 1024
    .name:           _ZN9rocsolver6v33100L18larfg_kernel_smallILi1024E19rocblas_complex_numIdEidPS3_EEvT1_T3_llPT2_llS6_lS5_lPT0_l
    .private_segment_fixed_size: 0
    .sgpr_count:     36
    .sgpr_spill_count: 0
    .symbol:         _ZN9rocsolver6v33100L18larfg_kernel_smallILi1024E19rocblas_complex_numIdEidPS3_EEvT1_T3_llPT2_llS6_lS5_lPT0_l.kd
    .uniform_work_group_size: 1
    .uses_dynamic_stack: false
    .vgpr_count:     42
    .vgpr_spill_count: 0
    .wavefront_size: 32
    .workgroup_processor_mode: 1
  - .args:
      - .offset:         0
        .size:           4
        .value_kind:     by_value
      - .address_space:  global
        .offset:         8
        .size:           8
        .value_kind:     global_buffer
      - .offset:         16
        .size:           8
        .value_kind:     by_value
      - .offset:         24
        .size:           8
        .value_kind:     by_value
      - .address_space:  global
        .offset:         32
        .size:           8
        .value_kind:     global_buffer
      - .offset:         40
        .size:           8
        .value_kind:     by_value
      - .offset:         48
        .size:           8
        .value_kind:     by_value
      - .address_space:  global
        .offset:         56
        .size:           8
        .value_kind:     global_buffer
      - .offset:         64
        .size:           8
        .value_kind:     by_value
      - .offset:         72
        .size:           4
        .value_kind:     by_value
      - .offset:         80
        .size:           8
        .value_kind:     by_value
      - .address_space:  global
        .offset:         88
        .size:           8
        .value_kind:     global_buffer
      - .offset:         96
        .size:           8
        .value_kind:     by_value
    .group_segment_fixed_size: 32
    .kernarg_segment_align: 8
    .kernarg_segment_size: 104
    .language:       OpenCL C
    .language_version:
      - 2
      - 0
    .max_flat_workgroup_size: 64
    .name:           _ZN9rocsolver6v33100L18larfg_kernel_smallILi64E19rocblas_complex_numIdEidPKPS3_EEvT1_T3_llPT2_llS8_lS7_lPT0_l
    .private_segment_fixed_size: 0
    .sgpr_count:     30
    .sgpr_spill_count: 0
    .symbol:         _ZN9rocsolver6v33100L18larfg_kernel_smallILi64E19rocblas_complex_numIdEidPKPS3_EEvT1_T3_llPT2_llS8_lS7_lPT0_l.kd
    .uniform_work_group_size: 1
    .uses_dynamic_stack: false
    .vgpr_count:     43
    .vgpr_spill_count: 0
    .wavefront_size: 32
    .workgroup_processor_mode: 1
  - .args:
      - .offset:         0
        .size:           4
        .value_kind:     by_value
      - .address_space:  global
        .offset:         8
        .size:           8
        .value_kind:     global_buffer
      - .offset:         16
        .size:           8
        .value_kind:     by_value
      - .offset:         24
        .size:           8
        .value_kind:     by_value
      - .address_space:  global
        .offset:         32
        .size:           8
        .value_kind:     global_buffer
      - .offset:         40
        .size:           8
        .value_kind:     by_value
      - .offset:         48
        .size:           8
        .value_kind:     by_value
      - .address_space:  global
        .offset:         56
        .size:           8
        .value_kind:     global_buffer
      - .offset:         64
        .size:           8
        .value_kind:     by_value
      - .offset:         72
        .size:           4
        .value_kind:     by_value
      - .offset:         80
        .size:           8
        .value_kind:     by_value
      - .address_space:  global
        .offset:         88
        .size:           8
        .value_kind:     global_buffer
      - .offset:         96
        .size:           8
        .value_kind:     by_value
    .group_segment_fixed_size: 64
    .kernarg_segment_align: 8
    .kernarg_segment_size: 104
    .language:       OpenCL C
    .language_version:
      - 2
      - 0
    .max_flat_workgroup_size: 128
    .name:           _ZN9rocsolver6v33100L18larfg_kernel_smallILi128E19rocblas_complex_numIdEidPKPS3_EEvT1_T3_llPT2_llS8_lS7_lPT0_l
    .private_segment_fixed_size: 0
    .sgpr_count:     30
    .sgpr_spill_count: 0
    .symbol:         _ZN9rocsolver6v33100L18larfg_kernel_smallILi128E19rocblas_complex_numIdEidPKPS3_EEvT1_T3_llPT2_llS8_lS7_lPT0_l.kd
    .uniform_work_group_size: 1
    .uses_dynamic_stack: false
    .vgpr_count:     43
    .vgpr_spill_count: 0
    .wavefront_size: 32
    .workgroup_processor_mode: 1
  - .args:
      - .offset:         0
        .size:           4
        .value_kind:     by_value
      - .address_space:  global
        .offset:         8
        .size:           8
        .value_kind:     global_buffer
      - .offset:         16
        .size:           8
        .value_kind:     by_value
      - .offset:         24
        .size:           8
        .value_kind:     by_value
      - .address_space:  global
        .offset:         32
        .size:           8
        .value_kind:     global_buffer
      - .offset:         40
        .size:           8
        .value_kind:     by_value
      - .offset:         48
        .size:           8
        .value_kind:     by_value
      - .address_space:  global
        .offset:         56
        .size:           8
        .value_kind:     global_buffer
      - .offset:         64
        .size:           8
        .value_kind:     by_value
      - .offset:         72
        .size:           4
        .value_kind:     by_value
      - .offset:         80
        .size:           8
        .value_kind:     by_value
      - .address_space:  global
        .offset:         88
        .size:           8
        .value_kind:     global_buffer
      - .offset:         96
        .size:           8
        .value_kind:     by_value
    .group_segment_fixed_size: 128
    .kernarg_segment_align: 8
    .kernarg_segment_size: 104
    .language:       OpenCL C
    .language_version:
      - 2
      - 0
    .max_flat_workgroup_size: 256
    .name:           _ZN9rocsolver6v33100L18larfg_kernel_smallILi256E19rocblas_complex_numIdEidPKPS3_EEvT1_T3_llPT2_llS8_lS7_lPT0_l
    .private_segment_fixed_size: 0
    .sgpr_count:     30
    .sgpr_spill_count: 0
    .symbol:         _ZN9rocsolver6v33100L18larfg_kernel_smallILi256E19rocblas_complex_numIdEidPKPS3_EEvT1_T3_llPT2_llS8_lS7_lPT0_l.kd
    .uniform_work_group_size: 1
    .uses_dynamic_stack: false
    .vgpr_count:     43
    .vgpr_spill_count: 0
    .wavefront_size: 32
    .workgroup_processor_mode: 1
  - .args:
      - .offset:         0
        .size:           4
        .value_kind:     by_value
      - .address_space:  global
        .offset:         8
        .size:           8
        .value_kind:     global_buffer
      - .offset:         16
        .size:           8
        .value_kind:     by_value
      - .offset:         24
        .size:           8
        .value_kind:     by_value
      - .address_space:  global
        .offset:         32
        .size:           8
        .value_kind:     global_buffer
      - .offset:         40
        .size:           8
        .value_kind:     by_value
      - .offset:         48
        .size:           8
        .value_kind:     by_value
      - .address_space:  global
        .offset:         56
        .size:           8
        .value_kind:     global_buffer
      - .offset:         64
        .size:           8
        .value_kind:     by_value
      - .offset:         72
        .size:           4
        .value_kind:     by_value
      - .offset:         80
        .size:           8
        .value_kind:     by_value
      - .address_space:  global
        .offset:         88
        .size:           8
        .value_kind:     global_buffer
      - .offset:         96
        .size:           8
        .value_kind:     by_value
    .group_segment_fixed_size: 256
    .kernarg_segment_align: 8
    .kernarg_segment_size: 104
    .language:       OpenCL C
    .language_version:
      - 2
      - 0
    .max_flat_workgroup_size: 512
    .name:           _ZN9rocsolver6v33100L18larfg_kernel_smallILi512E19rocblas_complex_numIdEidPKPS3_EEvT1_T3_llPT2_llS8_lS7_lPT0_l
    .private_segment_fixed_size: 0
    .sgpr_count:     30
    .sgpr_spill_count: 0
    .symbol:         _ZN9rocsolver6v33100L18larfg_kernel_smallILi512E19rocblas_complex_numIdEidPKPS3_EEvT1_T3_llPT2_llS8_lS7_lPT0_l.kd
    .uniform_work_group_size: 1
    .uses_dynamic_stack: false
    .vgpr_count:     43
    .vgpr_spill_count: 0
    .wavefront_size: 32
    .workgroup_processor_mode: 1
  - .args:
      - .offset:         0
        .size:           4
        .value_kind:     by_value
      - .address_space:  global
        .offset:         8
        .size:           8
        .value_kind:     global_buffer
      - .offset:         16
        .size:           8
        .value_kind:     by_value
      - .offset:         24
        .size:           8
        .value_kind:     by_value
      - .address_space:  global
        .offset:         32
        .size:           8
        .value_kind:     global_buffer
      - .offset:         40
        .size:           8
        .value_kind:     by_value
      - .offset:         48
        .size:           8
        .value_kind:     by_value
      - .address_space:  global
        .offset:         56
        .size:           8
        .value_kind:     global_buffer
      - .offset:         64
        .size:           8
        .value_kind:     by_value
      - .offset:         72
        .size:           4
        .value_kind:     by_value
      - .offset:         80
        .size:           8
        .value_kind:     by_value
      - .address_space:  global
        .offset:         88
        .size:           8
        .value_kind:     global_buffer
      - .offset:         96
        .size:           8
        .value_kind:     by_value
    .group_segment_fixed_size: 512
    .kernarg_segment_align: 8
    .kernarg_segment_size: 104
    .language:       OpenCL C
    .language_version:
      - 2
      - 0
    .max_flat_workgroup_size: 1024
    .name:           _ZN9rocsolver6v33100L18larfg_kernel_smallILi1024E19rocblas_complex_numIdEidPKPS3_EEvT1_T3_llPT2_llS8_lS7_lPT0_l
    .private_segment_fixed_size: 0
    .sgpr_count:     30
    .sgpr_spill_count: 0
    .symbol:         _ZN9rocsolver6v33100L18larfg_kernel_smallILi1024E19rocblas_complex_numIdEidPKPS3_EEvT1_T3_llPT2_llS8_lS7_lPT0_l.kd
    .uniform_work_group_size: 1
    .uses_dynamic_stack: false
    .vgpr_count:     43
    .vgpr_spill_count: 0
    .wavefront_size: 32
    .workgroup_processor_mode: 1
  - .args:
      - .offset:         0
        .size:           8
        .value_kind:     by_value
      - .address_space:  global
        .offset:         8
        .size:           8
        .value_kind:     global_buffer
      - .offset:         16
        .size:           8
        .value_kind:     by_value
      - .offset:         24
        .size:           8
        .value_kind:     by_value
      - .address_space:  global
        .offset:         32
        .size:           8
        .value_kind:     global_buffer
      - .offset:         40
        .size:           8
        .value_kind:     by_value
      - .offset:         48
        .size:           8
        .value_kind:     by_value
      - .address_space:  global
        .offset:         56
        .size:           8
        .value_kind:     global_buffer
      - .offset:         64
        .size:           8
        .value_kind:     by_value
      - .offset:         72
        .size:           8
        .value_kind:     by_value
      - .offset:         80
        .size:           8
        .value_kind:     by_value
      - .address_space:  global
        .offset:         88
        .size:           8
        .value_kind:     global_buffer
      - .offset:         96
        .size:           8
        .value_kind:     by_value
    .group_segment_fixed_size: 32
    .kernarg_segment_align: 8
    .kernarg_segment_size: 104
    .language:       OpenCL C
    .language_version:
      - 2
      - 0
    .max_flat_workgroup_size: 64
    .name:           _ZN9rocsolver6v33100L18larfg_kernel_smallILi64E19rocblas_complex_numIdEldPS3_EEvT1_T3_llPT2_llS6_lS5_lPT0_l
    .private_segment_fixed_size: 0
    .sgpr_count:     38
    .sgpr_spill_count: 0
    .symbol:         _ZN9rocsolver6v33100L18larfg_kernel_smallILi64E19rocblas_complex_numIdEldPS3_EEvT1_T3_llPT2_llS6_lS5_lPT0_l.kd
    .uniform_work_group_size: 1
    .uses_dynamic_stack: false
    .vgpr_count:     42
    .vgpr_spill_count: 0
    .wavefront_size: 32
    .workgroup_processor_mode: 1
  - .args:
      - .offset:         0
        .size:           8
        .value_kind:     by_value
      - .address_space:  global
        .offset:         8
        .size:           8
        .value_kind:     global_buffer
      - .offset:         16
        .size:           8
        .value_kind:     by_value
      - .offset:         24
        .size:           8
        .value_kind:     by_value
      - .address_space:  global
        .offset:         32
        .size:           8
        .value_kind:     global_buffer
      - .offset:         40
        .size:           8
        .value_kind:     by_value
      - .offset:         48
        .size:           8
        .value_kind:     by_value
      - .address_space:  global
        .offset:         56
        .size:           8
        .value_kind:     global_buffer
      - .offset:         64
        .size:           8
        .value_kind:     by_value
      - .offset:         72
        .size:           8
        .value_kind:     by_value
      - .offset:         80
        .size:           8
        .value_kind:     by_value
      - .address_space:  global
        .offset:         88
        .size:           8
        .value_kind:     global_buffer
      - .offset:         96
        .size:           8
        .value_kind:     by_value
    .group_segment_fixed_size: 64
    .kernarg_segment_align: 8
    .kernarg_segment_size: 104
    .language:       OpenCL C
    .language_version:
      - 2
      - 0
    .max_flat_workgroup_size: 128
    .name:           _ZN9rocsolver6v33100L18larfg_kernel_smallILi128E19rocblas_complex_numIdEldPS3_EEvT1_T3_llPT2_llS6_lS5_lPT0_l
    .private_segment_fixed_size: 0
    .sgpr_count:     38
    .sgpr_spill_count: 0
    .symbol:         _ZN9rocsolver6v33100L18larfg_kernel_smallILi128E19rocblas_complex_numIdEldPS3_EEvT1_T3_llPT2_llS6_lS5_lPT0_l.kd
    .uniform_work_group_size: 1
    .uses_dynamic_stack: false
    .vgpr_count:     42
    .vgpr_spill_count: 0
    .wavefront_size: 32
    .workgroup_processor_mode: 1
  - .args:
      - .offset:         0
        .size:           8
        .value_kind:     by_value
      - .address_space:  global
        .offset:         8
        .size:           8
        .value_kind:     global_buffer
      - .offset:         16
        .size:           8
        .value_kind:     by_value
      - .offset:         24
        .size:           8
        .value_kind:     by_value
      - .address_space:  global
        .offset:         32
        .size:           8
        .value_kind:     global_buffer
      - .offset:         40
        .size:           8
        .value_kind:     by_value
      - .offset:         48
        .size:           8
        .value_kind:     by_value
      - .address_space:  global
        .offset:         56
        .size:           8
        .value_kind:     global_buffer
      - .offset:         64
        .size:           8
        .value_kind:     by_value
      - .offset:         72
        .size:           8
        .value_kind:     by_value
      - .offset:         80
        .size:           8
        .value_kind:     by_value
      - .address_space:  global
        .offset:         88
        .size:           8
        .value_kind:     global_buffer
      - .offset:         96
        .size:           8
        .value_kind:     by_value
    .group_segment_fixed_size: 128
    .kernarg_segment_align: 8
    .kernarg_segment_size: 104
    .language:       OpenCL C
    .language_version:
      - 2
      - 0
    .max_flat_workgroup_size: 256
    .name:           _ZN9rocsolver6v33100L18larfg_kernel_smallILi256E19rocblas_complex_numIdEldPS3_EEvT1_T3_llPT2_llS6_lS5_lPT0_l
    .private_segment_fixed_size: 0
    .sgpr_count:     38
    .sgpr_spill_count: 0
    .symbol:         _ZN9rocsolver6v33100L18larfg_kernel_smallILi256E19rocblas_complex_numIdEldPS3_EEvT1_T3_llPT2_llS6_lS5_lPT0_l.kd
    .uniform_work_group_size: 1
    .uses_dynamic_stack: false
    .vgpr_count:     42
    .vgpr_spill_count: 0
    .wavefront_size: 32
    .workgroup_processor_mode: 1
  - .args:
      - .offset:         0
        .size:           8
        .value_kind:     by_value
      - .address_space:  global
        .offset:         8
        .size:           8
        .value_kind:     global_buffer
      - .offset:         16
        .size:           8
        .value_kind:     by_value
      - .offset:         24
        .size:           8
        .value_kind:     by_value
      - .address_space:  global
        .offset:         32
        .size:           8
        .value_kind:     global_buffer
      - .offset:         40
        .size:           8
        .value_kind:     by_value
      - .offset:         48
        .size:           8
        .value_kind:     by_value
      - .address_space:  global
        .offset:         56
        .size:           8
        .value_kind:     global_buffer
      - .offset:         64
        .size:           8
        .value_kind:     by_value
      - .offset:         72
        .size:           8
        .value_kind:     by_value
      - .offset:         80
        .size:           8
        .value_kind:     by_value
      - .address_space:  global
        .offset:         88
        .size:           8
        .value_kind:     global_buffer
      - .offset:         96
        .size:           8
        .value_kind:     by_value
    .group_segment_fixed_size: 256
    .kernarg_segment_align: 8
    .kernarg_segment_size: 104
    .language:       OpenCL C
    .language_version:
      - 2
      - 0
    .max_flat_workgroup_size: 512
    .name:           _ZN9rocsolver6v33100L18larfg_kernel_smallILi512E19rocblas_complex_numIdEldPS3_EEvT1_T3_llPT2_llS6_lS5_lPT0_l
    .private_segment_fixed_size: 0
    .sgpr_count:     38
    .sgpr_spill_count: 0
    .symbol:         _ZN9rocsolver6v33100L18larfg_kernel_smallILi512E19rocblas_complex_numIdEldPS3_EEvT1_T3_llPT2_llS6_lS5_lPT0_l.kd
    .uniform_work_group_size: 1
    .uses_dynamic_stack: false
    .vgpr_count:     42
    .vgpr_spill_count: 0
    .wavefront_size: 32
    .workgroup_processor_mode: 1
  - .args:
      - .offset:         0
        .size:           8
        .value_kind:     by_value
      - .address_space:  global
        .offset:         8
        .size:           8
        .value_kind:     global_buffer
      - .offset:         16
        .size:           8
        .value_kind:     by_value
      - .offset:         24
        .size:           8
        .value_kind:     by_value
      - .address_space:  global
        .offset:         32
        .size:           8
        .value_kind:     global_buffer
      - .offset:         40
        .size:           8
        .value_kind:     by_value
      - .offset:         48
        .size:           8
        .value_kind:     by_value
      - .address_space:  global
        .offset:         56
        .size:           8
        .value_kind:     global_buffer
      - .offset:         64
        .size:           8
        .value_kind:     by_value
      - .offset:         72
        .size:           8
        .value_kind:     by_value
      - .offset:         80
        .size:           8
        .value_kind:     by_value
      - .address_space:  global
        .offset:         88
        .size:           8
        .value_kind:     global_buffer
      - .offset:         96
        .size:           8
        .value_kind:     by_value
    .group_segment_fixed_size: 512
    .kernarg_segment_align: 8
    .kernarg_segment_size: 104
    .language:       OpenCL C
    .language_version:
      - 2
      - 0
    .max_flat_workgroup_size: 1024
    .name:           _ZN9rocsolver6v33100L18larfg_kernel_smallILi1024E19rocblas_complex_numIdEldPS3_EEvT1_T3_llPT2_llS6_lS5_lPT0_l
    .private_segment_fixed_size: 0
    .sgpr_count:     38
    .sgpr_spill_count: 0
    .symbol:         _ZN9rocsolver6v33100L18larfg_kernel_smallILi1024E19rocblas_complex_numIdEldPS3_EEvT1_T3_llPT2_llS6_lS5_lPT0_l.kd
    .uniform_work_group_size: 1
    .uses_dynamic_stack: false
    .vgpr_count:     42
    .vgpr_spill_count: 0
    .wavefront_size: 32
    .workgroup_processor_mode: 1
  - .args:
      - .offset:         0
        .size:           8
        .value_kind:     by_value
      - .address_space:  global
        .offset:         8
        .size:           8
        .value_kind:     global_buffer
      - .offset:         16
        .size:           8
        .value_kind:     by_value
      - .offset:         24
        .size:           8
        .value_kind:     by_value
      - .address_space:  global
        .offset:         32
        .size:           8
        .value_kind:     global_buffer
      - .offset:         40
        .size:           8
        .value_kind:     by_value
      - .offset:         48
        .size:           8
        .value_kind:     by_value
      - .address_space:  global
        .offset:         56
        .size:           8
        .value_kind:     global_buffer
      - .offset:         64
        .size:           8
        .value_kind:     by_value
      - .offset:         72
        .size:           8
        .value_kind:     by_value
      - .offset:         80
        .size:           8
        .value_kind:     by_value
      - .address_space:  global
        .offset:         88
        .size:           8
        .value_kind:     global_buffer
      - .offset:         96
        .size:           8
        .value_kind:     by_value
    .group_segment_fixed_size: 32
    .kernarg_segment_align: 8
    .kernarg_segment_size: 104
    .language:       OpenCL C
    .language_version:
      - 2
      - 0
    .max_flat_workgroup_size: 64
    .name:           _ZN9rocsolver6v33100L18larfg_kernel_smallILi64E19rocblas_complex_numIdEldPKPS3_EEvT1_T3_llPT2_llS8_lS7_lPT0_l
    .private_segment_fixed_size: 0
    .sgpr_count:     30
    .sgpr_spill_count: 0
    .symbol:         _ZN9rocsolver6v33100L18larfg_kernel_smallILi64E19rocblas_complex_numIdEldPKPS3_EEvT1_T3_llPT2_llS8_lS7_lPT0_l.kd
    .uniform_work_group_size: 1
    .uses_dynamic_stack: false
    .vgpr_count:     43
    .vgpr_spill_count: 0
    .wavefront_size: 32
    .workgroup_processor_mode: 1
  - .args:
      - .offset:         0
        .size:           8
        .value_kind:     by_value
      - .address_space:  global
        .offset:         8
        .size:           8
        .value_kind:     global_buffer
      - .offset:         16
        .size:           8
        .value_kind:     by_value
      - .offset:         24
        .size:           8
        .value_kind:     by_value
      - .address_space:  global
        .offset:         32
        .size:           8
        .value_kind:     global_buffer
      - .offset:         40
        .size:           8
        .value_kind:     by_value
      - .offset:         48
        .size:           8
        .value_kind:     by_value
      - .address_space:  global
        .offset:         56
        .size:           8
        .value_kind:     global_buffer
      - .offset:         64
        .size:           8
        .value_kind:     by_value
      - .offset:         72
        .size:           8
        .value_kind:     by_value
      - .offset:         80
        .size:           8
        .value_kind:     by_value
      - .address_space:  global
        .offset:         88
        .size:           8
        .value_kind:     global_buffer
      - .offset:         96
        .size:           8
        .value_kind:     by_value
    .group_segment_fixed_size: 64
    .kernarg_segment_align: 8
    .kernarg_segment_size: 104
    .language:       OpenCL C
    .language_version:
      - 2
      - 0
    .max_flat_workgroup_size: 128
    .name:           _ZN9rocsolver6v33100L18larfg_kernel_smallILi128E19rocblas_complex_numIdEldPKPS3_EEvT1_T3_llPT2_llS8_lS7_lPT0_l
    .private_segment_fixed_size: 0
    .sgpr_count:     30
    .sgpr_spill_count: 0
    .symbol:         _ZN9rocsolver6v33100L18larfg_kernel_smallILi128E19rocblas_complex_numIdEldPKPS3_EEvT1_T3_llPT2_llS8_lS7_lPT0_l.kd
    .uniform_work_group_size: 1
    .uses_dynamic_stack: false
    .vgpr_count:     43
    .vgpr_spill_count: 0
    .wavefront_size: 32
    .workgroup_processor_mode: 1
  - .args:
      - .offset:         0
        .size:           8
        .value_kind:     by_value
      - .address_space:  global
        .offset:         8
        .size:           8
        .value_kind:     global_buffer
      - .offset:         16
        .size:           8
        .value_kind:     by_value
      - .offset:         24
        .size:           8
        .value_kind:     by_value
      - .address_space:  global
        .offset:         32
        .size:           8
        .value_kind:     global_buffer
      - .offset:         40
        .size:           8
        .value_kind:     by_value
      - .offset:         48
        .size:           8
        .value_kind:     by_value
      - .address_space:  global
        .offset:         56
        .size:           8
        .value_kind:     global_buffer
      - .offset:         64
        .size:           8
        .value_kind:     by_value
      - .offset:         72
        .size:           8
        .value_kind:     by_value
      - .offset:         80
        .size:           8
        .value_kind:     by_value
      - .address_space:  global
        .offset:         88
        .size:           8
        .value_kind:     global_buffer
      - .offset:         96
        .size:           8
        .value_kind:     by_value
    .group_segment_fixed_size: 128
    .kernarg_segment_align: 8
    .kernarg_segment_size: 104
    .language:       OpenCL C
    .language_version:
      - 2
      - 0
    .max_flat_workgroup_size: 256
    .name:           _ZN9rocsolver6v33100L18larfg_kernel_smallILi256E19rocblas_complex_numIdEldPKPS3_EEvT1_T3_llPT2_llS8_lS7_lPT0_l
    .private_segment_fixed_size: 0
    .sgpr_count:     30
    .sgpr_spill_count: 0
    .symbol:         _ZN9rocsolver6v33100L18larfg_kernel_smallILi256E19rocblas_complex_numIdEldPKPS3_EEvT1_T3_llPT2_llS8_lS7_lPT0_l.kd
    .uniform_work_group_size: 1
    .uses_dynamic_stack: false
    .vgpr_count:     43
    .vgpr_spill_count: 0
    .wavefront_size: 32
    .workgroup_processor_mode: 1
  - .args:
      - .offset:         0
        .size:           8
        .value_kind:     by_value
      - .address_space:  global
        .offset:         8
        .size:           8
        .value_kind:     global_buffer
      - .offset:         16
        .size:           8
        .value_kind:     by_value
      - .offset:         24
        .size:           8
        .value_kind:     by_value
      - .address_space:  global
        .offset:         32
        .size:           8
        .value_kind:     global_buffer
      - .offset:         40
        .size:           8
        .value_kind:     by_value
      - .offset:         48
        .size:           8
        .value_kind:     by_value
      - .address_space:  global
        .offset:         56
        .size:           8
        .value_kind:     global_buffer
      - .offset:         64
        .size:           8
        .value_kind:     by_value
      - .offset:         72
        .size:           8
        .value_kind:     by_value
      - .offset:         80
        .size:           8
        .value_kind:     by_value
      - .address_space:  global
        .offset:         88
        .size:           8
        .value_kind:     global_buffer
      - .offset:         96
        .size:           8
        .value_kind:     by_value
    .group_segment_fixed_size: 256
    .kernarg_segment_align: 8
    .kernarg_segment_size: 104
    .language:       OpenCL C
    .language_version:
      - 2
      - 0
    .max_flat_workgroup_size: 512
    .name:           _ZN9rocsolver6v33100L18larfg_kernel_smallILi512E19rocblas_complex_numIdEldPKPS3_EEvT1_T3_llPT2_llS8_lS7_lPT0_l
    .private_segment_fixed_size: 0
    .sgpr_count:     30
    .sgpr_spill_count: 0
    .symbol:         _ZN9rocsolver6v33100L18larfg_kernel_smallILi512E19rocblas_complex_numIdEldPKPS3_EEvT1_T3_llPT2_llS8_lS7_lPT0_l.kd
    .uniform_work_group_size: 1
    .uses_dynamic_stack: false
    .vgpr_count:     43
    .vgpr_spill_count: 0
    .wavefront_size: 32
    .workgroup_processor_mode: 1
  - .args:
      - .offset:         0
        .size:           8
        .value_kind:     by_value
      - .address_space:  global
        .offset:         8
        .size:           8
        .value_kind:     global_buffer
      - .offset:         16
        .size:           8
        .value_kind:     by_value
      - .offset:         24
        .size:           8
        .value_kind:     by_value
      - .address_space:  global
        .offset:         32
        .size:           8
        .value_kind:     global_buffer
      - .offset:         40
        .size:           8
        .value_kind:     by_value
      - .offset:         48
        .size:           8
        .value_kind:     by_value
      - .address_space:  global
        .offset:         56
        .size:           8
        .value_kind:     global_buffer
      - .offset:         64
        .size:           8
        .value_kind:     by_value
      - .offset:         72
        .size:           8
        .value_kind:     by_value
      - .offset:         80
        .size:           8
        .value_kind:     by_value
      - .address_space:  global
        .offset:         88
        .size:           8
        .value_kind:     global_buffer
      - .offset:         96
        .size:           8
        .value_kind:     by_value
    .group_segment_fixed_size: 512
    .kernarg_segment_align: 8
    .kernarg_segment_size: 104
    .language:       OpenCL C
    .language_version:
      - 2
      - 0
    .max_flat_workgroup_size: 1024
    .name:           _ZN9rocsolver6v33100L18larfg_kernel_smallILi1024E19rocblas_complex_numIdEldPKPS3_EEvT1_T3_llPT2_llS8_lS7_lPT0_l
    .private_segment_fixed_size: 0
    .sgpr_count:     30
    .sgpr_spill_count: 0
    .symbol:         _ZN9rocsolver6v33100L18larfg_kernel_smallILi1024E19rocblas_complex_numIdEldPKPS3_EEvT1_T3_llPT2_llS8_lS7_lPT0_l.kd
    .uniform_work_group_size: 1
    .uses_dynamic_stack: false
    .vgpr_count:     43
    .vgpr_spill_count: 0
    .wavefront_size: 32
    .workgroup_processor_mode: 1
amdhsa.target:   amdgcn-amd-amdhsa--gfx1100
amdhsa.version:
  - 1
  - 2
...

	.end_amdgpu_metadata
